;; amdgpu-corpus repo=ROCm/rocThrust kind=compiled arch=gfx906 opt=O3
	.amdgcn_target "amdgcn-amd-amdhsa--gfx906"
	.amdhsa_code_object_version 6
	.section	.text._ZN6thrust23THRUST_200600_302600_NS11hip_rocprim14__parallel_for6kernelILj256ENS1_10for_each_fINS0_10device_ptrI7point2dEENS0_6detail16wrapped_functionINS8_23allocator_traits_detail24construct1_via_allocatorINS0_16device_allocatorIS6_EEEEvEEEEmLj1EEEvT0_T1_SI_,"axG",@progbits,_ZN6thrust23THRUST_200600_302600_NS11hip_rocprim14__parallel_for6kernelILj256ENS1_10for_each_fINS0_10device_ptrI7point2dEENS0_6detail16wrapped_functionINS8_23allocator_traits_detail24construct1_via_allocatorINS0_16device_allocatorIS6_EEEEvEEEEmLj1EEEvT0_T1_SI_,comdat
	.protected	_ZN6thrust23THRUST_200600_302600_NS11hip_rocprim14__parallel_for6kernelILj256ENS1_10for_each_fINS0_10device_ptrI7point2dEENS0_6detail16wrapped_functionINS8_23allocator_traits_detail24construct1_via_allocatorINS0_16device_allocatorIS6_EEEEvEEEEmLj1EEEvT0_T1_SI_ ; -- Begin function _ZN6thrust23THRUST_200600_302600_NS11hip_rocprim14__parallel_for6kernelILj256ENS1_10for_each_fINS0_10device_ptrI7point2dEENS0_6detail16wrapped_functionINS8_23allocator_traits_detail24construct1_via_allocatorINS0_16device_allocatorIS6_EEEEvEEEEmLj1EEEvT0_T1_SI_
	.globl	_ZN6thrust23THRUST_200600_302600_NS11hip_rocprim14__parallel_for6kernelILj256ENS1_10for_each_fINS0_10device_ptrI7point2dEENS0_6detail16wrapped_functionINS8_23allocator_traits_detail24construct1_via_allocatorINS0_16device_allocatorIS6_EEEEvEEEEmLj1EEEvT0_T1_SI_
	.p2align	8
	.type	_ZN6thrust23THRUST_200600_302600_NS11hip_rocprim14__parallel_for6kernelILj256ENS1_10for_each_fINS0_10device_ptrI7point2dEENS0_6detail16wrapped_functionINS8_23allocator_traits_detail24construct1_via_allocatorINS0_16device_allocatorIS6_EEEEvEEEEmLj1EEEvT0_T1_SI_,@function
_ZN6thrust23THRUST_200600_302600_NS11hip_rocprim14__parallel_for6kernelILj256ENS1_10for_each_fINS0_10device_ptrI7point2dEENS0_6detail16wrapped_functionINS8_23allocator_traits_detail24construct1_via_allocatorINS0_16device_allocatorIS6_EEEEvEEEEmLj1EEEvT0_T1_SI_: ; @_ZN6thrust23THRUST_200600_302600_NS11hip_rocprim14__parallel_for6kernelILj256ENS1_10for_each_fINS0_10device_ptrI7point2dEENS0_6detail16wrapped_functionINS8_23allocator_traits_detail24construct1_via_allocatorINS0_16device_allocatorIS6_EEEEvEEEEmLj1EEEvT0_T1_SI_
; %bb.0:
	s_load_dwordx4 s[8:11], s[4:5], 0x10
	s_load_dwordx2 s[0:1], s[4:5], 0x0
	s_lshl_b32 s2, s6, 8
	v_mov_b32_e32 v1, 0xff
	v_mov_b32_e32 v2, 0
	s_waitcnt lgkmcnt(0)
	s_add_u32 s2, s10, s2
	s_addc_u32 s3, s11, 0
	s_sub_u32 s4, s8, s2
	s_subb_u32 s5, s9, s3
	v_cmp_gt_u64_e32 vcc, s[4:5], v[1:2]
	s_mov_b64 s[6:7], -1
	s_cbranch_vccz .LBB0_3
; %bb.1:
	s_andn2_b64 vcc, exec, s[6:7]
	s_cbranch_vccz .LBB0_6
.LBB0_2:
	s_endpgm
.LBB0_3:
	v_cmp_gt_u32_e32 vcc, s4, v0
	s_and_saveexec_b64 s[4:5], vcc
	s_cbranch_execz .LBB0_5
; %bb.4:
	s_lshl_b64 s[6:7], s[2:3], 3
	s_add_u32 s6, s0, s6
	s_addc_u32 s7, s1, s7
	v_lshlrev_b32_e32 v1, 3, v0
	v_mov_b32_e32 v2, s7
	v_add_co_u32_e32 v1, vcc, s6, v1
	v_mov_b32_e32 v3, 0
	v_addc_co_u32_e32 v2, vcc, 0, v2, vcc
	v_mov_b32_e32 v4, v3
	flat_store_dwordx2 v[1:2], v[3:4]
.LBB0_5:
	s_or_b64 exec, exec, s[4:5]
	s_cbranch_execnz .LBB0_2
.LBB0_6:
	s_lshl_b64 s[2:3], s[2:3], 3
	s_add_u32 s0, s0, s2
	s_addc_u32 s1, s1, s3
	v_lshlrev_b32_e32 v0, 3, v0
	v_mov_b32_e32 v1, s1
	v_add_co_u32_e32 v0, vcc, s0, v0
	v_mov_b32_e32 v2, 0
	v_addc_co_u32_e32 v1, vcc, 0, v1, vcc
	v_mov_b32_e32 v3, v2
	flat_store_dwordx2 v[0:1], v[2:3]
	s_endpgm
	.section	.rodata,"a",@progbits
	.p2align	6, 0x0
	.amdhsa_kernel _ZN6thrust23THRUST_200600_302600_NS11hip_rocprim14__parallel_for6kernelILj256ENS1_10for_each_fINS0_10device_ptrI7point2dEENS0_6detail16wrapped_functionINS8_23allocator_traits_detail24construct1_via_allocatorINS0_16device_allocatorIS6_EEEEvEEEEmLj1EEEvT0_T1_SI_
		.amdhsa_group_segment_fixed_size 0
		.amdhsa_private_segment_fixed_size 0
		.amdhsa_kernarg_size 32
		.amdhsa_user_sgpr_count 6
		.amdhsa_user_sgpr_private_segment_buffer 1
		.amdhsa_user_sgpr_dispatch_ptr 0
		.amdhsa_user_sgpr_queue_ptr 0
		.amdhsa_user_sgpr_kernarg_segment_ptr 1
		.amdhsa_user_sgpr_dispatch_id 0
		.amdhsa_user_sgpr_flat_scratch_init 0
		.amdhsa_user_sgpr_private_segment_size 0
		.amdhsa_uses_dynamic_stack 0
		.amdhsa_system_sgpr_private_segment_wavefront_offset 0
		.amdhsa_system_sgpr_workgroup_id_x 1
		.amdhsa_system_sgpr_workgroup_id_y 0
		.amdhsa_system_sgpr_workgroup_id_z 0
		.amdhsa_system_sgpr_workgroup_info 0
		.amdhsa_system_vgpr_workitem_id 0
		.amdhsa_next_free_vgpr 5
		.amdhsa_next_free_sgpr 12
		.amdhsa_reserve_vcc 1
		.amdhsa_reserve_flat_scratch 0
		.amdhsa_float_round_mode_32 0
		.amdhsa_float_round_mode_16_64 0
		.amdhsa_float_denorm_mode_32 3
		.amdhsa_float_denorm_mode_16_64 3
		.amdhsa_dx10_clamp 1
		.amdhsa_ieee_mode 1
		.amdhsa_fp16_overflow 0
		.amdhsa_exception_fp_ieee_invalid_op 0
		.amdhsa_exception_fp_denorm_src 0
		.amdhsa_exception_fp_ieee_div_zero 0
		.amdhsa_exception_fp_ieee_overflow 0
		.amdhsa_exception_fp_ieee_underflow 0
		.amdhsa_exception_fp_ieee_inexact 0
		.amdhsa_exception_int_div_zero 0
	.end_amdhsa_kernel
	.section	.text._ZN6thrust23THRUST_200600_302600_NS11hip_rocprim14__parallel_for6kernelILj256ENS1_10for_each_fINS0_10device_ptrI7point2dEENS0_6detail16wrapped_functionINS8_23allocator_traits_detail24construct1_via_allocatorINS0_16device_allocatorIS6_EEEEvEEEEmLj1EEEvT0_T1_SI_,"axG",@progbits,_ZN6thrust23THRUST_200600_302600_NS11hip_rocprim14__parallel_for6kernelILj256ENS1_10for_each_fINS0_10device_ptrI7point2dEENS0_6detail16wrapped_functionINS8_23allocator_traits_detail24construct1_via_allocatorINS0_16device_allocatorIS6_EEEEvEEEEmLj1EEEvT0_T1_SI_,comdat
.Lfunc_end0:
	.size	_ZN6thrust23THRUST_200600_302600_NS11hip_rocprim14__parallel_for6kernelILj256ENS1_10for_each_fINS0_10device_ptrI7point2dEENS0_6detail16wrapped_functionINS8_23allocator_traits_detail24construct1_via_allocatorINS0_16device_allocatorIS6_EEEEvEEEEmLj1EEEvT0_T1_SI_, .Lfunc_end0-_ZN6thrust23THRUST_200600_302600_NS11hip_rocprim14__parallel_for6kernelILj256ENS1_10for_each_fINS0_10device_ptrI7point2dEENS0_6detail16wrapped_functionINS8_23allocator_traits_detail24construct1_via_allocatorINS0_16device_allocatorIS6_EEEEvEEEEmLj1EEEvT0_T1_SI_
                                        ; -- End function
	.set _ZN6thrust23THRUST_200600_302600_NS11hip_rocprim14__parallel_for6kernelILj256ENS1_10for_each_fINS0_10device_ptrI7point2dEENS0_6detail16wrapped_functionINS8_23allocator_traits_detail24construct1_via_allocatorINS0_16device_allocatorIS6_EEEEvEEEEmLj1EEEvT0_T1_SI_.num_vgpr, 5
	.set _ZN6thrust23THRUST_200600_302600_NS11hip_rocprim14__parallel_for6kernelILj256ENS1_10for_each_fINS0_10device_ptrI7point2dEENS0_6detail16wrapped_functionINS8_23allocator_traits_detail24construct1_via_allocatorINS0_16device_allocatorIS6_EEEEvEEEEmLj1EEEvT0_T1_SI_.num_agpr, 0
	.set _ZN6thrust23THRUST_200600_302600_NS11hip_rocprim14__parallel_for6kernelILj256ENS1_10for_each_fINS0_10device_ptrI7point2dEENS0_6detail16wrapped_functionINS8_23allocator_traits_detail24construct1_via_allocatorINS0_16device_allocatorIS6_EEEEvEEEEmLj1EEEvT0_T1_SI_.numbered_sgpr, 12
	.set _ZN6thrust23THRUST_200600_302600_NS11hip_rocprim14__parallel_for6kernelILj256ENS1_10for_each_fINS0_10device_ptrI7point2dEENS0_6detail16wrapped_functionINS8_23allocator_traits_detail24construct1_via_allocatorINS0_16device_allocatorIS6_EEEEvEEEEmLj1EEEvT0_T1_SI_.num_named_barrier, 0
	.set _ZN6thrust23THRUST_200600_302600_NS11hip_rocprim14__parallel_for6kernelILj256ENS1_10for_each_fINS0_10device_ptrI7point2dEENS0_6detail16wrapped_functionINS8_23allocator_traits_detail24construct1_via_allocatorINS0_16device_allocatorIS6_EEEEvEEEEmLj1EEEvT0_T1_SI_.private_seg_size, 0
	.set _ZN6thrust23THRUST_200600_302600_NS11hip_rocprim14__parallel_for6kernelILj256ENS1_10for_each_fINS0_10device_ptrI7point2dEENS0_6detail16wrapped_functionINS8_23allocator_traits_detail24construct1_via_allocatorINS0_16device_allocatorIS6_EEEEvEEEEmLj1EEEvT0_T1_SI_.uses_vcc, 1
	.set _ZN6thrust23THRUST_200600_302600_NS11hip_rocprim14__parallel_for6kernelILj256ENS1_10for_each_fINS0_10device_ptrI7point2dEENS0_6detail16wrapped_functionINS8_23allocator_traits_detail24construct1_via_allocatorINS0_16device_allocatorIS6_EEEEvEEEEmLj1EEEvT0_T1_SI_.uses_flat_scratch, 0
	.set _ZN6thrust23THRUST_200600_302600_NS11hip_rocprim14__parallel_for6kernelILj256ENS1_10for_each_fINS0_10device_ptrI7point2dEENS0_6detail16wrapped_functionINS8_23allocator_traits_detail24construct1_via_allocatorINS0_16device_allocatorIS6_EEEEvEEEEmLj1EEEvT0_T1_SI_.has_dyn_sized_stack, 0
	.set _ZN6thrust23THRUST_200600_302600_NS11hip_rocprim14__parallel_for6kernelILj256ENS1_10for_each_fINS0_10device_ptrI7point2dEENS0_6detail16wrapped_functionINS8_23allocator_traits_detail24construct1_via_allocatorINS0_16device_allocatorIS6_EEEEvEEEEmLj1EEEvT0_T1_SI_.has_recursion, 0
	.set _ZN6thrust23THRUST_200600_302600_NS11hip_rocprim14__parallel_for6kernelILj256ENS1_10for_each_fINS0_10device_ptrI7point2dEENS0_6detail16wrapped_functionINS8_23allocator_traits_detail24construct1_via_allocatorINS0_16device_allocatorIS6_EEEEvEEEEmLj1EEEvT0_T1_SI_.has_indirect_call, 0
	.section	.AMDGPU.csdata,"",@progbits
; Kernel info:
; codeLenInByte = 188
; TotalNumSgprs: 16
; NumVgprs: 5
; ScratchSize: 0
; MemoryBound: 0
; FloatMode: 240
; IeeeMode: 1
; LDSByteSize: 0 bytes/workgroup (compile time only)
; SGPRBlocks: 1
; VGPRBlocks: 1
; NumSGPRsForWavesPerEU: 16
; NumVGPRsForWavesPerEU: 5
; Occupancy: 10
; WaveLimiterHint : 0
; COMPUTE_PGM_RSRC2:SCRATCH_EN: 0
; COMPUTE_PGM_RSRC2:USER_SGPR: 6
; COMPUTE_PGM_RSRC2:TRAP_HANDLER: 0
; COMPUTE_PGM_RSRC2:TGID_X_EN: 1
; COMPUTE_PGM_RSRC2:TGID_Y_EN: 0
; COMPUTE_PGM_RSRC2:TGID_Z_EN: 0
; COMPUTE_PGM_RSRC2:TIDIG_COMP_CNT: 0
	.section	.text._ZN6thrust23THRUST_200600_302600_NS11hip_rocprim14__parallel_for6kernelILj256ENS1_10for_each_fINS0_10device_ptrI7point2dEENS0_6detail16wrapped_functionINS8_23allocator_traits_detail5gozerEvEEEElLj1EEEvT0_T1_SF_,"axG",@progbits,_ZN6thrust23THRUST_200600_302600_NS11hip_rocprim14__parallel_for6kernelILj256ENS1_10for_each_fINS0_10device_ptrI7point2dEENS0_6detail16wrapped_functionINS8_23allocator_traits_detail5gozerEvEEEElLj1EEEvT0_T1_SF_,comdat
	.protected	_ZN6thrust23THRUST_200600_302600_NS11hip_rocprim14__parallel_for6kernelILj256ENS1_10for_each_fINS0_10device_ptrI7point2dEENS0_6detail16wrapped_functionINS8_23allocator_traits_detail5gozerEvEEEElLj1EEEvT0_T1_SF_ ; -- Begin function _ZN6thrust23THRUST_200600_302600_NS11hip_rocprim14__parallel_for6kernelILj256ENS1_10for_each_fINS0_10device_ptrI7point2dEENS0_6detail16wrapped_functionINS8_23allocator_traits_detail5gozerEvEEEElLj1EEEvT0_T1_SF_
	.globl	_ZN6thrust23THRUST_200600_302600_NS11hip_rocprim14__parallel_for6kernelILj256ENS1_10for_each_fINS0_10device_ptrI7point2dEENS0_6detail16wrapped_functionINS8_23allocator_traits_detail5gozerEvEEEElLj1EEEvT0_T1_SF_
	.p2align	8
	.type	_ZN6thrust23THRUST_200600_302600_NS11hip_rocprim14__parallel_for6kernelILj256ENS1_10for_each_fINS0_10device_ptrI7point2dEENS0_6detail16wrapped_functionINS8_23allocator_traits_detail5gozerEvEEEElLj1EEEvT0_T1_SF_,@function
_ZN6thrust23THRUST_200600_302600_NS11hip_rocprim14__parallel_for6kernelILj256ENS1_10for_each_fINS0_10device_ptrI7point2dEENS0_6detail16wrapped_functionINS8_23allocator_traits_detail5gozerEvEEEElLj1EEEvT0_T1_SF_: ; @_ZN6thrust23THRUST_200600_302600_NS11hip_rocprim14__parallel_for6kernelILj256ENS1_10for_each_fINS0_10device_ptrI7point2dEENS0_6detail16wrapped_functionINS8_23allocator_traits_detail5gozerEvEEEElLj1EEEvT0_T1_SF_
; %bb.0:
	s_endpgm
	.section	.rodata,"a",@progbits
	.p2align	6, 0x0
	.amdhsa_kernel _ZN6thrust23THRUST_200600_302600_NS11hip_rocprim14__parallel_for6kernelILj256ENS1_10for_each_fINS0_10device_ptrI7point2dEENS0_6detail16wrapped_functionINS8_23allocator_traits_detail5gozerEvEEEElLj1EEEvT0_T1_SF_
		.amdhsa_group_segment_fixed_size 0
		.amdhsa_private_segment_fixed_size 0
		.amdhsa_kernarg_size 32
		.amdhsa_user_sgpr_count 6
		.amdhsa_user_sgpr_private_segment_buffer 1
		.amdhsa_user_sgpr_dispatch_ptr 0
		.amdhsa_user_sgpr_queue_ptr 0
		.amdhsa_user_sgpr_kernarg_segment_ptr 1
		.amdhsa_user_sgpr_dispatch_id 0
		.amdhsa_user_sgpr_flat_scratch_init 0
		.amdhsa_user_sgpr_private_segment_size 0
		.amdhsa_uses_dynamic_stack 0
		.amdhsa_system_sgpr_private_segment_wavefront_offset 0
		.amdhsa_system_sgpr_workgroup_id_x 1
		.amdhsa_system_sgpr_workgroup_id_y 0
		.amdhsa_system_sgpr_workgroup_id_z 0
		.amdhsa_system_sgpr_workgroup_info 0
		.amdhsa_system_vgpr_workitem_id 0
		.amdhsa_next_free_vgpr 1
		.amdhsa_next_free_sgpr 0
		.amdhsa_reserve_vcc 0
		.amdhsa_reserve_flat_scratch 0
		.amdhsa_float_round_mode_32 0
		.amdhsa_float_round_mode_16_64 0
		.amdhsa_float_denorm_mode_32 3
		.amdhsa_float_denorm_mode_16_64 3
		.amdhsa_dx10_clamp 1
		.amdhsa_ieee_mode 1
		.amdhsa_fp16_overflow 0
		.amdhsa_exception_fp_ieee_invalid_op 0
		.amdhsa_exception_fp_denorm_src 0
		.amdhsa_exception_fp_ieee_div_zero 0
		.amdhsa_exception_fp_ieee_overflow 0
		.amdhsa_exception_fp_ieee_underflow 0
		.amdhsa_exception_fp_ieee_inexact 0
		.amdhsa_exception_int_div_zero 0
	.end_amdhsa_kernel
	.section	.text._ZN6thrust23THRUST_200600_302600_NS11hip_rocprim14__parallel_for6kernelILj256ENS1_10for_each_fINS0_10device_ptrI7point2dEENS0_6detail16wrapped_functionINS8_23allocator_traits_detail5gozerEvEEEElLj1EEEvT0_T1_SF_,"axG",@progbits,_ZN6thrust23THRUST_200600_302600_NS11hip_rocprim14__parallel_for6kernelILj256ENS1_10for_each_fINS0_10device_ptrI7point2dEENS0_6detail16wrapped_functionINS8_23allocator_traits_detail5gozerEvEEEElLj1EEEvT0_T1_SF_,comdat
.Lfunc_end1:
	.size	_ZN6thrust23THRUST_200600_302600_NS11hip_rocprim14__parallel_for6kernelILj256ENS1_10for_each_fINS0_10device_ptrI7point2dEENS0_6detail16wrapped_functionINS8_23allocator_traits_detail5gozerEvEEEElLj1EEEvT0_T1_SF_, .Lfunc_end1-_ZN6thrust23THRUST_200600_302600_NS11hip_rocprim14__parallel_for6kernelILj256ENS1_10for_each_fINS0_10device_ptrI7point2dEENS0_6detail16wrapped_functionINS8_23allocator_traits_detail5gozerEvEEEElLj1EEEvT0_T1_SF_
                                        ; -- End function
	.set _ZN6thrust23THRUST_200600_302600_NS11hip_rocprim14__parallel_for6kernelILj256ENS1_10for_each_fINS0_10device_ptrI7point2dEENS0_6detail16wrapped_functionINS8_23allocator_traits_detail5gozerEvEEEElLj1EEEvT0_T1_SF_.num_vgpr, 0
	.set _ZN6thrust23THRUST_200600_302600_NS11hip_rocprim14__parallel_for6kernelILj256ENS1_10for_each_fINS0_10device_ptrI7point2dEENS0_6detail16wrapped_functionINS8_23allocator_traits_detail5gozerEvEEEElLj1EEEvT0_T1_SF_.num_agpr, 0
	.set _ZN6thrust23THRUST_200600_302600_NS11hip_rocprim14__parallel_for6kernelILj256ENS1_10for_each_fINS0_10device_ptrI7point2dEENS0_6detail16wrapped_functionINS8_23allocator_traits_detail5gozerEvEEEElLj1EEEvT0_T1_SF_.numbered_sgpr, 0
	.set _ZN6thrust23THRUST_200600_302600_NS11hip_rocprim14__parallel_for6kernelILj256ENS1_10for_each_fINS0_10device_ptrI7point2dEENS0_6detail16wrapped_functionINS8_23allocator_traits_detail5gozerEvEEEElLj1EEEvT0_T1_SF_.num_named_barrier, 0
	.set _ZN6thrust23THRUST_200600_302600_NS11hip_rocprim14__parallel_for6kernelILj256ENS1_10for_each_fINS0_10device_ptrI7point2dEENS0_6detail16wrapped_functionINS8_23allocator_traits_detail5gozerEvEEEElLj1EEEvT0_T1_SF_.private_seg_size, 0
	.set _ZN6thrust23THRUST_200600_302600_NS11hip_rocprim14__parallel_for6kernelILj256ENS1_10for_each_fINS0_10device_ptrI7point2dEENS0_6detail16wrapped_functionINS8_23allocator_traits_detail5gozerEvEEEElLj1EEEvT0_T1_SF_.uses_vcc, 0
	.set _ZN6thrust23THRUST_200600_302600_NS11hip_rocprim14__parallel_for6kernelILj256ENS1_10for_each_fINS0_10device_ptrI7point2dEENS0_6detail16wrapped_functionINS8_23allocator_traits_detail5gozerEvEEEElLj1EEEvT0_T1_SF_.uses_flat_scratch, 0
	.set _ZN6thrust23THRUST_200600_302600_NS11hip_rocprim14__parallel_for6kernelILj256ENS1_10for_each_fINS0_10device_ptrI7point2dEENS0_6detail16wrapped_functionINS8_23allocator_traits_detail5gozerEvEEEElLj1EEEvT0_T1_SF_.has_dyn_sized_stack, 0
	.set _ZN6thrust23THRUST_200600_302600_NS11hip_rocprim14__parallel_for6kernelILj256ENS1_10for_each_fINS0_10device_ptrI7point2dEENS0_6detail16wrapped_functionINS8_23allocator_traits_detail5gozerEvEEEElLj1EEEvT0_T1_SF_.has_recursion, 0
	.set _ZN6thrust23THRUST_200600_302600_NS11hip_rocprim14__parallel_for6kernelILj256ENS1_10for_each_fINS0_10device_ptrI7point2dEENS0_6detail16wrapped_functionINS8_23allocator_traits_detail5gozerEvEEEElLj1EEEvT0_T1_SF_.has_indirect_call, 0
	.section	.AMDGPU.csdata,"",@progbits
; Kernel info:
; codeLenInByte = 4
; TotalNumSgprs: 4
; NumVgprs: 0
; ScratchSize: 0
; MemoryBound: 0
; FloatMode: 240
; IeeeMode: 1
; LDSByteSize: 0 bytes/workgroup (compile time only)
; SGPRBlocks: 0
; VGPRBlocks: 0
; NumSGPRsForWavesPerEU: 4
; NumVGPRsForWavesPerEU: 1
; Occupancy: 10
; WaveLimiterHint : 0
; COMPUTE_PGM_RSRC2:SCRATCH_EN: 0
; COMPUTE_PGM_RSRC2:USER_SGPR: 6
; COMPUTE_PGM_RSRC2:TRAP_HANDLER: 0
; COMPUTE_PGM_RSRC2:TGID_X_EN: 1
; COMPUTE_PGM_RSRC2:TGID_Y_EN: 0
; COMPUTE_PGM_RSRC2:TGID_Z_EN: 0
; COMPUTE_PGM_RSRC2:TIDIG_COMP_CNT: 0
	.section	.text._ZN7rocprim17ROCPRIM_400000_NS6detail17trampoline_kernelINS0_14default_configENS1_22reduce_config_selectorI4bboxEEZNS1_11reduce_implILb1ES3_PS5_S8_S5_14bbox_reductionEE10hipError_tPvRmT1_T2_T3_mT4_P12ihipStream_tbEUlT_E0_NS1_11comp_targetILNS1_3genE0ELNS1_11target_archE4294967295ELNS1_3gpuE0ELNS1_3repE0EEENS1_30default_config_static_selectorELNS0_4arch9wavefront6targetE1EEEvSD_,"axG",@progbits,_ZN7rocprim17ROCPRIM_400000_NS6detail17trampoline_kernelINS0_14default_configENS1_22reduce_config_selectorI4bboxEEZNS1_11reduce_implILb1ES3_PS5_S8_S5_14bbox_reductionEE10hipError_tPvRmT1_T2_T3_mT4_P12ihipStream_tbEUlT_E0_NS1_11comp_targetILNS1_3genE0ELNS1_11target_archE4294967295ELNS1_3gpuE0ELNS1_3repE0EEENS1_30default_config_static_selectorELNS0_4arch9wavefront6targetE1EEEvSD_,comdat
	.protected	_ZN7rocprim17ROCPRIM_400000_NS6detail17trampoline_kernelINS0_14default_configENS1_22reduce_config_selectorI4bboxEEZNS1_11reduce_implILb1ES3_PS5_S8_S5_14bbox_reductionEE10hipError_tPvRmT1_T2_T3_mT4_P12ihipStream_tbEUlT_E0_NS1_11comp_targetILNS1_3genE0ELNS1_11target_archE4294967295ELNS1_3gpuE0ELNS1_3repE0EEENS1_30default_config_static_selectorELNS0_4arch9wavefront6targetE1EEEvSD_ ; -- Begin function _ZN7rocprim17ROCPRIM_400000_NS6detail17trampoline_kernelINS0_14default_configENS1_22reduce_config_selectorI4bboxEEZNS1_11reduce_implILb1ES3_PS5_S8_S5_14bbox_reductionEE10hipError_tPvRmT1_T2_T3_mT4_P12ihipStream_tbEUlT_E0_NS1_11comp_targetILNS1_3genE0ELNS1_11target_archE4294967295ELNS1_3gpuE0ELNS1_3repE0EEENS1_30default_config_static_selectorELNS0_4arch9wavefront6targetE1EEEvSD_
	.globl	_ZN7rocprim17ROCPRIM_400000_NS6detail17trampoline_kernelINS0_14default_configENS1_22reduce_config_selectorI4bboxEEZNS1_11reduce_implILb1ES3_PS5_S8_S5_14bbox_reductionEE10hipError_tPvRmT1_T2_T3_mT4_P12ihipStream_tbEUlT_E0_NS1_11comp_targetILNS1_3genE0ELNS1_11target_archE4294967295ELNS1_3gpuE0ELNS1_3repE0EEENS1_30default_config_static_selectorELNS0_4arch9wavefront6targetE1EEEvSD_
	.p2align	8
	.type	_ZN7rocprim17ROCPRIM_400000_NS6detail17trampoline_kernelINS0_14default_configENS1_22reduce_config_selectorI4bboxEEZNS1_11reduce_implILb1ES3_PS5_S8_S5_14bbox_reductionEE10hipError_tPvRmT1_T2_T3_mT4_P12ihipStream_tbEUlT_E0_NS1_11comp_targetILNS1_3genE0ELNS1_11target_archE4294967295ELNS1_3gpuE0ELNS1_3repE0EEENS1_30default_config_static_selectorELNS0_4arch9wavefront6targetE1EEEvSD_,@function
_ZN7rocprim17ROCPRIM_400000_NS6detail17trampoline_kernelINS0_14default_configENS1_22reduce_config_selectorI4bboxEEZNS1_11reduce_implILb1ES3_PS5_S8_S5_14bbox_reductionEE10hipError_tPvRmT1_T2_T3_mT4_P12ihipStream_tbEUlT_E0_NS1_11comp_targetILNS1_3genE0ELNS1_11target_archE4294967295ELNS1_3gpuE0ELNS1_3repE0EEENS1_30default_config_static_selectorELNS0_4arch9wavefront6targetE1EEEvSD_: ; @_ZN7rocprim17ROCPRIM_400000_NS6detail17trampoline_kernelINS0_14default_configENS1_22reduce_config_selectorI4bboxEEZNS1_11reduce_implILb1ES3_PS5_S8_S5_14bbox_reductionEE10hipError_tPvRmT1_T2_T3_mT4_P12ihipStream_tbEUlT_E0_NS1_11comp_targetILNS1_3genE0ELNS1_11target_archE4294967295ELNS1_3gpuE0ELNS1_3repE0EEENS1_30default_config_static_selectorELNS0_4arch9wavefront6targetE1EEEvSD_
; %bb.0:
	.section	.rodata,"a",@progbits
	.p2align	6, 0x0
	.amdhsa_kernel _ZN7rocprim17ROCPRIM_400000_NS6detail17trampoline_kernelINS0_14default_configENS1_22reduce_config_selectorI4bboxEEZNS1_11reduce_implILb1ES3_PS5_S8_S5_14bbox_reductionEE10hipError_tPvRmT1_T2_T3_mT4_P12ihipStream_tbEUlT_E0_NS1_11comp_targetILNS1_3genE0ELNS1_11target_archE4294967295ELNS1_3gpuE0ELNS1_3repE0EEENS1_30default_config_static_selectorELNS0_4arch9wavefront6targetE1EEEvSD_
		.amdhsa_group_segment_fixed_size 0
		.amdhsa_private_segment_fixed_size 0
		.amdhsa_kernarg_size 72
		.amdhsa_user_sgpr_count 6
		.amdhsa_user_sgpr_private_segment_buffer 1
		.amdhsa_user_sgpr_dispatch_ptr 0
		.amdhsa_user_sgpr_queue_ptr 0
		.amdhsa_user_sgpr_kernarg_segment_ptr 1
		.amdhsa_user_sgpr_dispatch_id 0
		.amdhsa_user_sgpr_flat_scratch_init 0
		.amdhsa_user_sgpr_private_segment_size 0
		.amdhsa_uses_dynamic_stack 0
		.amdhsa_system_sgpr_private_segment_wavefront_offset 0
		.amdhsa_system_sgpr_workgroup_id_x 1
		.amdhsa_system_sgpr_workgroup_id_y 0
		.amdhsa_system_sgpr_workgroup_id_z 0
		.amdhsa_system_sgpr_workgroup_info 0
		.amdhsa_system_vgpr_workitem_id 0
		.amdhsa_next_free_vgpr 1
		.amdhsa_next_free_sgpr 0
		.amdhsa_reserve_vcc 0
		.amdhsa_reserve_flat_scratch 0
		.amdhsa_float_round_mode_32 0
		.amdhsa_float_round_mode_16_64 0
		.amdhsa_float_denorm_mode_32 3
		.amdhsa_float_denorm_mode_16_64 3
		.amdhsa_dx10_clamp 1
		.amdhsa_ieee_mode 1
		.amdhsa_fp16_overflow 0
		.amdhsa_exception_fp_ieee_invalid_op 0
		.amdhsa_exception_fp_denorm_src 0
		.amdhsa_exception_fp_ieee_div_zero 0
		.amdhsa_exception_fp_ieee_overflow 0
		.amdhsa_exception_fp_ieee_underflow 0
		.amdhsa_exception_fp_ieee_inexact 0
		.amdhsa_exception_int_div_zero 0
	.end_amdhsa_kernel
	.section	.text._ZN7rocprim17ROCPRIM_400000_NS6detail17trampoline_kernelINS0_14default_configENS1_22reduce_config_selectorI4bboxEEZNS1_11reduce_implILb1ES3_PS5_S8_S5_14bbox_reductionEE10hipError_tPvRmT1_T2_T3_mT4_P12ihipStream_tbEUlT_E0_NS1_11comp_targetILNS1_3genE0ELNS1_11target_archE4294967295ELNS1_3gpuE0ELNS1_3repE0EEENS1_30default_config_static_selectorELNS0_4arch9wavefront6targetE1EEEvSD_,"axG",@progbits,_ZN7rocprim17ROCPRIM_400000_NS6detail17trampoline_kernelINS0_14default_configENS1_22reduce_config_selectorI4bboxEEZNS1_11reduce_implILb1ES3_PS5_S8_S5_14bbox_reductionEE10hipError_tPvRmT1_T2_T3_mT4_P12ihipStream_tbEUlT_E0_NS1_11comp_targetILNS1_3genE0ELNS1_11target_archE4294967295ELNS1_3gpuE0ELNS1_3repE0EEENS1_30default_config_static_selectorELNS0_4arch9wavefront6targetE1EEEvSD_,comdat
.Lfunc_end2:
	.size	_ZN7rocprim17ROCPRIM_400000_NS6detail17trampoline_kernelINS0_14default_configENS1_22reduce_config_selectorI4bboxEEZNS1_11reduce_implILb1ES3_PS5_S8_S5_14bbox_reductionEE10hipError_tPvRmT1_T2_T3_mT4_P12ihipStream_tbEUlT_E0_NS1_11comp_targetILNS1_3genE0ELNS1_11target_archE4294967295ELNS1_3gpuE0ELNS1_3repE0EEENS1_30default_config_static_selectorELNS0_4arch9wavefront6targetE1EEEvSD_, .Lfunc_end2-_ZN7rocprim17ROCPRIM_400000_NS6detail17trampoline_kernelINS0_14default_configENS1_22reduce_config_selectorI4bboxEEZNS1_11reduce_implILb1ES3_PS5_S8_S5_14bbox_reductionEE10hipError_tPvRmT1_T2_T3_mT4_P12ihipStream_tbEUlT_E0_NS1_11comp_targetILNS1_3genE0ELNS1_11target_archE4294967295ELNS1_3gpuE0ELNS1_3repE0EEENS1_30default_config_static_selectorELNS0_4arch9wavefront6targetE1EEEvSD_
                                        ; -- End function
	.set _ZN7rocprim17ROCPRIM_400000_NS6detail17trampoline_kernelINS0_14default_configENS1_22reduce_config_selectorI4bboxEEZNS1_11reduce_implILb1ES3_PS5_S8_S5_14bbox_reductionEE10hipError_tPvRmT1_T2_T3_mT4_P12ihipStream_tbEUlT_E0_NS1_11comp_targetILNS1_3genE0ELNS1_11target_archE4294967295ELNS1_3gpuE0ELNS1_3repE0EEENS1_30default_config_static_selectorELNS0_4arch9wavefront6targetE1EEEvSD_.num_vgpr, 0
	.set _ZN7rocprim17ROCPRIM_400000_NS6detail17trampoline_kernelINS0_14default_configENS1_22reduce_config_selectorI4bboxEEZNS1_11reduce_implILb1ES3_PS5_S8_S5_14bbox_reductionEE10hipError_tPvRmT1_T2_T3_mT4_P12ihipStream_tbEUlT_E0_NS1_11comp_targetILNS1_3genE0ELNS1_11target_archE4294967295ELNS1_3gpuE0ELNS1_3repE0EEENS1_30default_config_static_selectorELNS0_4arch9wavefront6targetE1EEEvSD_.num_agpr, 0
	.set _ZN7rocprim17ROCPRIM_400000_NS6detail17trampoline_kernelINS0_14default_configENS1_22reduce_config_selectorI4bboxEEZNS1_11reduce_implILb1ES3_PS5_S8_S5_14bbox_reductionEE10hipError_tPvRmT1_T2_T3_mT4_P12ihipStream_tbEUlT_E0_NS1_11comp_targetILNS1_3genE0ELNS1_11target_archE4294967295ELNS1_3gpuE0ELNS1_3repE0EEENS1_30default_config_static_selectorELNS0_4arch9wavefront6targetE1EEEvSD_.numbered_sgpr, 0
	.set _ZN7rocprim17ROCPRIM_400000_NS6detail17trampoline_kernelINS0_14default_configENS1_22reduce_config_selectorI4bboxEEZNS1_11reduce_implILb1ES3_PS5_S8_S5_14bbox_reductionEE10hipError_tPvRmT1_T2_T3_mT4_P12ihipStream_tbEUlT_E0_NS1_11comp_targetILNS1_3genE0ELNS1_11target_archE4294967295ELNS1_3gpuE0ELNS1_3repE0EEENS1_30default_config_static_selectorELNS0_4arch9wavefront6targetE1EEEvSD_.num_named_barrier, 0
	.set _ZN7rocprim17ROCPRIM_400000_NS6detail17trampoline_kernelINS0_14default_configENS1_22reduce_config_selectorI4bboxEEZNS1_11reduce_implILb1ES3_PS5_S8_S5_14bbox_reductionEE10hipError_tPvRmT1_T2_T3_mT4_P12ihipStream_tbEUlT_E0_NS1_11comp_targetILNS1_3genE0ELNS1_11target_archE4294967295ELNS1_3gpuE0ELNS1_3repE0EEENS1_30default_config_static_selectorELNS0_4arch9wavefront6targetE1EEEvSD_.private_seg_size, 0
	.set _ZN7rocprim17ROCPRIM_400000_NS6detail17trampoline_kernelINS0_14default_configENS1_22reduce_config_selectorI4bboxEEZNS1_11reduce_implILb1ES3_PS5_S8_S5_14bbox_reductionEE10hipError_tPvRmT1_T2_T3_mT4_P12ihipStream_tbEUlT_E0_NS1_11comp_targetILNS1_3genE0ELNS1_11target_archE4294967295ELNS1_3gpuE0ELNS1_3repE0EEENS1_30default_config_static_selectorELNS0_4arch9wavefront6targetE1EEEvSD_.uses_vcc, 0
	.set _ZN7rocprim17ROCPRIM_400000_NS6detail17trampoline_kernelINS0_14default_configENS1_22reduce_config_selectorI4bboxEEZNS1_11reduce_implILb1ES3_PS5_S8_S5_14bbox_reductionEE10hipError_tPvRmT1_T2_T3_mT4_P12ihipStream_tbEUlT_E0_NS1_11comp_targetILNS1_3genE0ELNS1_11target_archE4294967295ELNS1_3gpuE0ELNS1_3repE0EEENS1_30default_config_static_selectorELNS0_4arch9wavefront6targetE1EEEvSD_.uses_flat_scratch, 0
	.set _ZN7rocprim17ROCPRIM_400000_NS6detail17trampoline_kernelINS0_14default_configENS1_22reduce_config_selectorI4bboxEEZNS1_11reduce_implILb1ES3_PS5_S8_S5_14bbox_reductionEE10hipError_tPvRmT1_T2_T3_mT4_P12ihipStream_tbEUlT_E0_NS1_11comp_targetILNS1_3genE0ELNS1_11target_archE4294967295ELNS1_3gpuE0ELNS1_3repE0EEENS1_30default_config_static_selectorELNS0_4arch9wavefront6targetE1EEEvSD_.has_dyn_sized_stack, 0
	.set _ZN7rocprim17ROCPRIM_400000_NS6detail17trampoline_kernelINS0_14default_configENS1_22reduce_config_selectorI4bboxEEZNS1_11reduce_implILb1ES3_PS5_S8_S5_14bbox_reductionEE10hipError_tPvRmT1_T2_T3_mT4_P12ihipStream_tbEUlT_E0_NS1_11comp_targetILNS1_3genE0ELNS1_11target_archE4294967295ELNS1_3gpuE0ELNS1_3repE0EEENS1_30default_config_static_selectorELNS0_4arch9wavefront6targetE1EEEvSD_.has_recursion, 0
	.set _ZN7rocprim17ROCPRIM_400000_NS6detail17trampoline_kernelINS0_14default_configENS1_22reduce_config_selectorI4bboxEEZNS1_11reduce_implILb1ES3_PS5_S8_S5_14bbox_reductionEE10hipError_tPvRmT1_T2_T3_mT4_P12ihipStream_tbEUlT_E0_NS1_11comp_targetILNS1_3genE0ELNS1_11target_archE4294967295ELNS1_3gpuE0ELNS1_3repE0EEENS1_30default_config_static_selectorELNS0_4arch9wavefront6targetE1EEEvSD_.has_indirect_call, 0
	.section	.AMDGPU.csdata,"",@progbits
; Kernel info:
; codeLenInByte = 0
; TotalNumSgprs: 4
; NumVgprs: 0
; ScratchSize: 0
; MemoryBound: 0
; FloatMode: 240
; IeeeMode: 1
; LDSByteSize: 0 bytes/workgroup (compile time only)
; SGPRBlocks: 0
; VGPRBlocks: 0
; NumSGPRsForWavesPerEU: 4
; NumVGPRsForWavesPerEU: 1
; Occupancy: 10
; WaveLimiterHint : 0
; COMPUTE_PGM_RSRC2:SCRATCH_EN: 0
; COMPUTE_PGM_RSRC2:USER_SGPR: 6
; COMPUTE_PGM_RSRC2:TRAP_HANDLER: 0
; COMPUTE_PGM_RSRC2:TGID_X_EN: 1
; COMPUTE_PGM_RSRC2:TGID_Y_EN: 0
; COMPUTE_PGM_RSRC2:TGID_Z_EN: 0
; COMPUTE_PGM_RSRC2:TIDIG_COMP_CNT: 0
	.section	.text._ZN7rocprim17ROCPRIM_400000_NS6detail17trampoline_kernelINS0_14default_configENS1_22reduce_config_selectorI4bboxEEZNS1_11reduce_implILb1ES3_PS5_S8_S5_14bbox_reductionEE10hipError_tPvRmT1_T2_T3_mT4_P12ihipStream_tbEUlT_E0_NS1_11comp_targetILNS1_3genE5ELNS1_11target_archE942ELNS1_3gpuE9ELNS1_3repE0EEENS1_30default_config_static_selectorELNS0_4arch9wavefront6targetE1EEEvSD_,"axG",@progbits,_ZN7rocprim17ROCPRIM_400000_NS6detail17trampoline_kernelINS0_14default_configENS1_22reduce_config_selectorI4bboxEEZNS1_11reduce_implILb1ES3_PS5_S8_S5_14bbox_reductionEE10hipError_tPvRmT1_T2_T3_mT4_P12ihipStream_tbEUlT_E0_NS1_11comp_targetILNS1_3genE5ELNS1_11target_archE942ELNS1_3gpuE9ELNS1_3repE0EEENS1_30default_config_static_selectorELNS0_4arch9wavefront6targetE1EEEvSD_,comdat
	.protected	_ZN7rocprim17ROCPRIM_400000_NS6detail17trampoline_kernelINS0_14default_configENS1_22reduce_config_selectorI4bboxEEZNS1_11reduce_implILb1ES3_PS5_S8_S5_14bbox_reductionEE10hipError_tPvRmT1_T2_T3_mT4_P12ihipStream_tbEUlT_E0_NS1_11comp_targetILNS1_3genE5ELNS1_11target_archE942ELNS1_3gpuE9ELNS1_3repE0EEENS1_30default_config_static_selectorELNS0_4arch9wavefront6targetE1EEEvSD_ ; -- Begin function _ZN7rocprim17ROCPRIM_400000_NS6detail17trampoline_kernelINS0_14default_configENS1_22reduce_config_selectorI4bboxEEZNS1_11reduce_implILb1ES3_PS5_S8_S5_14bbox_reductionEE10hipError_tPvRmT1_T2_T3_mT4_P12ihipStream_tbEUlT_E0_NS1_11comp_targetILNS1_3genE5ELNS1_11target_archE942ELNS1_3gpuE9ELNS1_3repE0EEENS1_30default_config_static_selectorELNS0_4arch9wavefront6targetE1EEEvSD_
	.globl	_ZN7rocprim17ROCPRIM_400000_NS6detail17trampoline_kernelINS0_14default_configENS1_22reduce_config_selectorI4bboxEEZNS1_11reduce_implILb1ES3_PS5_S8_S5_14bbox_reductionEE10hipError_tPvRmT1_T2_T3_mT4_P12ihipStream_tbEUlT_E0_NS1_11comp_targetILNS1_3genE5ELNS1_11target_archE942ELNS1_3gpuE9ELNS1_3repE0EEENS1_30default_config_static_selectorELNS0_4arch9wavefront6targetE1EEEvSD_
	.p2align	8
	.type	_ZN7rocprim17ROCPRIM_400000_NS6detail17trampoline_kernelINS0_14default_configENS1_22reduce_config_selectorI4bboxEEZNS1_11reduce_implILb1ES3_PS5_S8_S5_14bbox_reductionEE10hipError_tPvRmT1_T2_T3_mT4_P12ihipStream_tbEUlT_E0_NS1_11comp_targetILNS1_3genE5ELNS1_11target_archE942ELNS1_3gpuE9ELNS1_3repE0EEENS1_30default_config_static_selectorELNS0_4arch9wavefront6targetE1EEEvSD_,@function
_ZN7rocprim17ROCPRIM_400000_NS6detail17trampoline_kernelINS0_14default_configENS1_22reduce_config_selectorI4bboxEEZNS1_11reduce_implILb1ES3_PS5_S8_S5_14bbox_reductionEE10hipError_tPvRmT1_T2_T3_mT4_P12ihipStream_tbEUlT_E0_NS1_11comp_targetILNS1_3genE5ELNS1_11target_archE942ELNS1_3gpuE9ELNS1_3repE0EEENS1_30default_config_static_selectorELNS0_4arch9wavefront6targetE1EEEvSD_: ; @_ZN7rocprim17ROCPRIM_400000_NS6detail17trampoline_kernelINS0_14default_configENS1_22reduce_config_selectorI4bboxEEZNS1_11reduce_implILb1ES3_PS5_S8_S5_14bbox_reductionEE10hipError_tPvRmT1_T2_T3_mT4_P12ihipStream_tbEUlT_E0_NS1_11comp_targetILNS1_3genE5ELNS1_11target_archE942ELNS1_3gpuE9ELNS1_3repE0EEENS1_30default_config_static_selectorELNS0_4arch9wavefront6targetE1EEEvSD_
; %bb.0:
	.section	.rodata,"a",@progbits
	.p2align	6, 0x0
	.amdhsa_kernel _ZN7rocprim17ROCPRIM_400000_NS6detail17trampoline_kernelINS0_14default_configENS1_22reduce_config_selectorI4bboxEEZNS1_11reduce_implILb1ES3_PS5_S8_S5_14bbox_reductionEE10hipError_tPvRmT1_T2_T3_mT4_P12ihipStream_tbEUlT_E0_NS1_11comp_targetILNS1_3genE5ELNS1_11target_archE942ELNS1_3gpuE9ELNS1_3repE0EEENS1_30default_config_static_selectorELNS0_4arch9wavefront6targetE1EEEvSD_
		.amdhsa_group_segment_fixed_size 0
		.amdhsa_private_segment_fixed_size 0
		.amdhsa_kernarg_size 72
		.amdhsa_user_sgpr_count 6
		.amdhsa_user_sgpr_private_segment_buffer 1
		.amdhsa_user_sgpr_dispatch_ptr 0
		.amdhsa_user_sgpr_queue_ptr 0
		.amdhsa_user_sgpr_kernarg_segment_ptr 1
		.amdhsa_user_sgpr_dispatch_id 0
		.amdhsa_user_sgpr_flat_scratch_init 0
		.amdhsa_user_sgpr_private_segment_size 0
		.amdhsa_uses_dynamic_stack 0
		.amdhsa_system_sgpr_private_segment_wavefront_offset 0
		.amdhsa_system_sgpr_workgroup_id_x 1
		.amdhsa_system_sgpr_workgroup_id_y 0
		.amdhsa_system_sgpr_workgroup_id_z 0
		.amdhsa_system_sgpr_workgroup_info 0
		.amdhsa_system_vgpr_workitem_id 0
		.amdhsa_next_free_vgpr 1
		.amdhsa_next_free_sgpr 0
		.amdhsa_reserve_vcc 0
		.amdhsa_reserve_flat_scratch 0
		.amdhsa_float_round_mode_32 0
		.amdhsa_float_round_mode_16_64 0
		.amdhsa_float_denorm_mode_32 3
		.amdhsa_float_denorm_mode_16_64 3
		.amdhsa_dx10_clamp 1
		.amdhsa_ieee_mode 1
		.amdhsa_fp16_overflow 0
		.amdhsa_exception_fp_ieee_invalid_op 0
		.amdhsa_exception_fp_denorm_src 0
		.amdhsa_exception_fp_ieee_div_zero 0
		.amdhsa_exception_fp_ieee_overflow 0
		.amdhsa_exception_fp_ieee_underflow 0
		.amdhsa_exception_fp_ieee_inexact 0
		.amdhsa_exception_int_div_zero 0
	.end_amdhsa_kernel
	.section	.text._ZN7rocprim17ROCPRIM_400000_NS6detail17trampoline_kernelINS0_14default_configENS1_22reduce_config_selectorI4bboxEEZNS1_11reduce_implILb1ES3_PS5_S8_S5_14bbox_reductionEE10hipError_tPvRmT1_T2_T3_mT4_P12ihipStream_tbEUlT_E0_NS1_11comp_targetILNS1_3genE5ELNS1_11target_archE942ELNS1_3gpuE9ELNS1_3repE0EEENS1_30default_config_static_selectorELNS0_4arch9wavefront6targetE1EEEvSD_,"axG",@progbits,_ZN7rocprim17ROCPRIM_400000_NS6detail17trampoline_kernelINS0_14default_configENS1_22reduce_config_selectorI4bboxEEZNS1_11reduce_implILb1ES3_PS5_S8_S5_14bbox_reductionEE10hipError_tPvRmT1_T2_T3_mT4_P12ihipStream_tbEUlT_E0_NS1_11comp_targetILNS1_3genE5ELNS1_11target_archE942ELNS1_3gpuE9ELNS1_3repE0EEENS1_30default_config_static_selectorELNS0_4arch9wavefront6targetE1EEEvSD_,comdat
.Lfunc_end3:
	.size	_ZN7rocprim17ROCPRIM_400000_NS6detail17trampoline_kernelINS0_14default_configENS1_22reduce_config_selectorI4bboxEEZNS1_11reduce_implILb1ES3_PS5_S8_S5_14bbox_reductionEE10hipError_tPvRmT1_T2_T3_mT4_P12ihipStream_tbEUlT_E0_NS1_11comp_targetILNS1_3genE5ELNS1_11target_archE942ELNS1_3gpuE9ELNS1_3repE0EEENS1_30default_config_static_selectorELNS0_4arch9wavefront6targetE1EEEvSD_, .Lfunc_end3-_ZN7rocprim17ROCPRIM_400000_NS6detail17trampoline_kernelINS0_14default_configENS1_22reduce_config_selectorI4bboxEEZNS1_11reduce_implILb1ES3_PS5_S8_S5_14bbox_reductionEE10hipError_tPvRmT1_T2_T3_mT4_P12ihipStream_tbEUlT_E0_NS1_11comp_targetILNS1_3genE5ELNS1_11target_archE942ELNS1_3gpuE9ELNS1_3repE0EEENS1_30default_config_static_selectorELNS0_4arch9wavefront6targetE1EEEvSD_
                                        ; -- End function
	.set _ZN7rocprim17ROCPRIM_400000_NS6detail17trampoline_kernelINS0_14default_configENS1_22reduce_config_selectorI4bboxEEZNS1_11reduce_implILb1ES3_PS5_S8_S5_14bbox_reductionEE10hipError_tPvRmT1_T2_T3_mT4_P12ihipStream_tbEUlT_E0_NS1_11comp_targetILNS1_3genE5ELNS1_11target_archE942ELNS1_3gpuE9ELNS1_3repE0EEENS1_30default_config_static_selectorELNS0_4arch9wavefront6targetE1EEEvSD_.num_vgpr, 0
	.set _ZN7rocprim17ROCPRIM_400000_NS6detail17trampoline_kernelINS0_14default_configENS1_22reduce_config_selectorI4bboxEEZNS1_11reduce_implILb1ES3_PS5_S8_S5_14bbox_reductionEE10hipError_tPvRmT1_T2_T3_mT4_P12ihipStream_tbEUlT_E0_NS1_11comp_targetILNS1_3genE5ELNS1_11target_archE942ELNS1_3gpuE9ELNS1_3repE0EEENS1_30default_config_static_selectorELNS0_4arch9wavefront6targetE1EEEvSD_.num_agpr, 0
	.set _ZN7rocprim17ROCPRIM_400000_NS6detail17trampoline_kernelINS0_14default_configENS1_22reduce_config_selectorI4bboxEEZNS1_11reduce_implILb1ES3_PS5_S8_S5_14bbox_reductionEE10hipError_tPvRmT1_T2_T3_mT4_P12ihipStream_tbEUlT_E0_NS1_11comp_targetILNS1_3genE5ELNS1_11target_archE942ELNS1_3gpuE9ELNS1_3repE0EEENS1_30default_config_static_selectorELNS0_4arch9wavefront6targetE1EEEvSD_.numbered_sgpr, 0
	.set _ZN7rocprim17ROCPRIM_400000_NS6detail17trampoline_kernelINS0_14default_configENS1_22reduce_config_selectorI4bboxEEZNS1_11reduce_implILb1ES3_PS5_S8_S5_14bbox_reductionEE10hipError_tPvRmT1_T2_T3_mT4_P12ihipStream_tbEUlT_E0_NS1_11comp_targetILNS1_3genE5ELNS1_11target_archE942ELNS1_3gpuE9ELNS1_3repE0EEENS1_30default_config_static_selectorELNS0_4arch9wavefront6targetE1EEEvSD_.num_named_barrier, 0
	.set _ZN7rocprim17ROCPRIM_400000_NS6detail17trampoline_kernelINS0_14default_configENS1_22reduce_config_selectorI4bboxEEZNS1_11reduce_implILb1ES3_PS5_S8_S5_14bbox_reductionEE10hipError_tPvRmT1_T2_T3_mT4_P12ihipStream_tbEUlT_E0_NS1_11comp_targetILNS1_3genE5ELNS1_11target_archE942ELNS1_3gpuE9ELNS1_3repE0EEENS1_30default_config_static_selectorELNS0_4arch9wavefront6targetE1EEEvSD_.private_seg_size, 0
	.set _ZN7rocprim17ROCPRIM_400000_NS6detail17trampoline_kernelINS0_14default_configENS1_22reduce_config_selectorI4bboxEEZNS1_11reduce_implILb1ES3_PS5_S8_S5_14bbox_reductionEE10hipError_tPvRmT1_T2_T3_mT4_P12ihipStream_tbEUlT_E0_NS1_11comp_targetILNS1_3genE5ELNS1_11target_archE942ELNS1_3gpuE9ELNS1_3repE0EEENS1_30default_config_static_selectorELNS0_4arch9wavefront6targetE1EEEvSD_.uses_vcc, 0
	.set _ZN7rocprim17ROCPRIM_400000_NS6detail17trampoline_kernelINS0_14default_configENS1_22reduce_config_selectorI4bboxEEZNS1_11reduce_implILb1ES3_PS5_S8_S5_14bbox_reductionEE10hipError_tPvRmT1_T2_T3_mT4_P12ihipStream_tbEUlT_E0_NS1_11comp_targetILNS1_3genE5ELNS1_11target_archE942ELNS1_3gpuE9ELNS1_3repE0EEENS1_30default_config_static_selectorELNS0_4arch9wavefront6targetE1EEEvSD_.uses_flat_scratch, 0
	.set _ZN7rocprim17ROCPRIM_400000_NS6detail17trampoline_kernelINS0_14default_configENS1_22reduce_config_selectorI4bboxEEZNS1_11reduce_implILb1ES3_PS5_S8_S5_14bbox_reductionEE10hipError_tPvRmT1_T2_T3_mT4_P12ihipStream_tbEUlT_E0_NS1_11comp_targetILNS1_3genE5ELNS1_11target_archE942ELNS1_3gpuE9ELNS1_3repE0EEENS1_30default_config_static_selectorELNS0_4arch9wavefront6targetE1EEEvSD_.has_dyn_sized_stack, 0
	.set _ZN7rocprim17ROCPRIM_400000_NS6detail17trampoline_kernelINS0_14default_configENS1_22reduce_config_selectorI4bboxEEZNS1_11reduce_implILb1ES3_PS5_S8_S5_14bbox_reductionEE10hipError_tPvRmT1_T2_T3_mT4_P12ihipStream_tbEUlT_E0_NS1_11comp_targetILNS1_3genE5ELNS1_11target_archE942ELNS1_3gpuE9ELNS1_3repE0EEENS1_30default_config_static_selectorELNS0_4arch9wavefront6targetE1EEEvSD_.has_recursion, 0
	.set _ZN7rocprim17ROCPRIM_400000_NS6detail17trampoline_kernelINS0_14default_configENS1_22reduce_config_selectorI4bboxEEZNS1_11reduce_implILb1ES3_PS5_S8_S5_14bbox_reductionEE10hipError_tPvRmT1_T2_T3_mT4_P12ihipStream_tbEUlT_E0_NS1_11comp_targetILNS1_3genE5ELNS1_11target_archE942ELNS1_3gpuE9ELNS1_3repE0EEENS1_30default_config_static_selectorELNS0_4arch9wavefront6targetE1EEEvSD_.has_indirect_call, 0
	.section	.AMDGPU.csdata,"",@progbits
; Kernel info:
; codeLenInByte = 0
; TotalNumSgprs: 4
; NumVgprs: 0
; ScratchSize: 0
; MemoryBound: 0
; FloatMode: 240
; IeeeMode: 1
; LDSByteSize: 0 bytes/workgroup (compile time only)
; SGPRBlocks: 0
; VGPRBlocks: 0
; NumSGPRsForWavesPerEU: 4
; NumVGPRsForWavesPerEU: 1
; Occupancy: 10
; WaveLimiterHint : 0
; COMPUTE_PGM_RSRC2:SCRATCH_EN: 0
; COMPUTE_PGM_RSRC2:USER_SGPR: 6
; COMPUTE_PGM_RSRC2:TRAP_HANDLER: 0
; COMPUTE_PGM_RSRC2:TGID_X_EN: 1
; COMPUTE_PGM_RSRC2:TGID_Y_EN: 0
; COMPUTE_PGM_RSRC2:TGID_Z_EN: 0
; COMPUTE_PGM_RSRC2:TIDIG_COMP_CNT: 0
	.section	.text._ZN7rocprim17ROCPRIM_400000_NS6detail17trampoline_kernelINS0_14default_configENS1_22reduce_config_selectorI4bboxEEZNS1_11reduce_implILb1ES3_PS5_S8_S5_14bbox_reductionEE10hipError_tPvRmT1_T2_T3_mT4_P12ihipStream_tbEUlT_E0_NS1_11comp_targetILNS1_3genE4ELNS1_11target_archE910ELNS1_3gpuE8ELNS1_3repE0EEENS1_30default_config_static_selectorELNS0_4arch9wavefront6targetE1EEEvSD_,"axG",@progbits,_ZN7rocprim17ROCPRIM_400000_NS6detail17trampoline_kernelINS0_14default_configENS1_22reduce_config_selectorI4bboxEEZNS1_11reduce_implILb1ES3_PS5_S8_S5_14bbox_reductionEE10hipError_tPvRmT1_T2_T3_mT4_P12ihipStream_tbEUlT_E0_NS1_11comp_targetILNS1_3genE4ELNS1_11target_archE910ELNS1_3gpuE8ELNS1_3repE0EEENS1_30default_config_static_selectorELNS0_4arch9wavefront6targetE1EEEvSD_,comdat
	.protected	_ZN7rocprim17ROCPRIM_400000_NS6detail17trampoline_kernelINS0_14default_configENS1_22reduce_config_selectorI4bboxEEZNS1_11reduce_implILb1ES3_PS5_S8_S5_14bbox_reductionEE10hipError_tPvRmT1_T2_T3_mT4_P12ihipStream_tbEUlT_E0_NS1_11comp_targetILNS1_3genE4ELNS1_11target_archE910ELNS1_3gpuE8ELNS1_3repE0EEENS1_30default_config_static_selectorELNS0_4arch9wavefront6targetE1EEEvSD_ ; -- Begin function _ZN7rocprim17ROCPRIM_400000_NS6detail17trampoline_kernelINS0_14default_configENS1_22reduce_config_selectorI4bboxEEZNS1_11reduce_implILb1ES3_PS5_S8_S5_14bbox_reductionEE10hipError_tPvRmT1_T2_T3_mT4_P12ihipStream_tbEUlT_E0_NS1_11comp_targetILNS1_3genE4ELNS1_11target_archE910ELNS1_3gpuE8ELNS1_3repE0EEENS1_30default_config_static_selectorELNS0_4arch9wavefront6targetE1EEEvSD_
	.globl	_ZN7rocprim17ROCPRIM_400000_NS6detail17trampoline_kernelINS0_14default_configENS1_22reduce_config_selectorI4bboxEEZNS1_11reduce_implILb1ES3_PS5_S8_S5_14bbox_reductionEE10hipError_tPvRmT1_T2_T3_mT4_P12ihipStream_tbEUlT_E0_NS1_11comp_targetILNS1_3genE4ELNS1_11target_archE910ELNS1_3gpuE8ELNS1_3repE0EEENS1_30default_config_static_selectorELNS0_4arch9wavefront6targetE1EEEvSD_
	.p2align	8
	.type	_ZN7rocprim17ROCPRIM_400000_NS6detail17trampoline_kernelINS0_14default_configENS1_22reduce_config_selectorI4bboxEEZNS1_11reduce_implILb1ES3_PS5_S8_S5_14bbox_reductionEE10hipError_tPvRmT1_T2_T3_mT4_P12ihipStream_tbEUlT_E0_NS1_11comp_targetILNS1_3genE4ELNS1_11target_archE910ELNS1_3gpuE8ELNS1_3repE0EEENS1_30default_config_static_selectorELNS0_4arch9wavefront6targetE1EEEvSD_,@function
_ZN7rocprim17ROCPRIM_400000_NS6detail17trampoline_kernelINS0_14default_configENS1_22reduce_config_selectorI4bboxEEZNS1_11reduce_implILb1ES3_PS5_S8_S5_14bbox_reductionEE10hipError_tPvRmT1_T2_T3_mT4_P12ihipStream_tbEUlT_E0_NS1_11comp_targetILNS1_3genE4ELNS1_11target_archE910ELNS1_3gpuE8ELNS1_3repE0EEENS1_30default_config_static_selectorELNS0_4arch9wavefront6targetE1EEEvSD_: ; @_ZN7rocprim17ROCPRIM_400000_NS6detail17trampoline_kernelINS0_14default_configENS1_22reduce_config_selectorI4bboxEEZNS1_11reduce_implILb1ES3_PS5_S8_S5_14bbox_reductionEE10hipError_tPvRmT1_T2_T3_mT4_P12ihipStream_tbEUlT_E0_NS1_11comp_targetILNS1_3genE4ELNS1_11target_archE910ELNS1_3gpuE8ELNS1_3repE0EEENS1_30default_config_static_selectorELNS0_4arch9wavefront6targetE1EEEvSD_
; %bb.0:
	.section	.rodata,"a",@progbits
	.p2align	6, 0x0
	.amdhsa_kernel _ZN7rocprim17ROCPRIM_400000_NS6detail17trampoline_kernelINS0_14default_configENS1_22reduce_config_selectorI4bboxEEZNS1_11reduce_implILb1ES3_PS5_S8_S5_14bbox_reductionEE10hipError_tPvRmT1_T2_T3_mT4_P12ihipStream_tbEUlT_E0_NS1_11comp_targetILNS1_3genE4ELNS1_11target_archE910ELNS1_3gpuE8ELNS1_3repE0EEENS1_30default_config_static_selectorELNS0_4arch9wavefront6targetE1EEEvSD_
		.amdhsa_group_segment_fixed_size 0
		.amdhsa_private_segment_fixed_size 0
		.amdhsa_kernarg_size 72
		.amdhsa_user_sgpr_count 6
		.amdhsa_user_sgpr_private_segment_buffer 1
		.amdhsa_user_sgpr_dispatch_ptr 0
		.amdhsa_user_sgpr_queue_ptr 0
		.amdhsa_user_sgpr_kernarg_segment_ptr 1
		.amdhsa_user_sgpr_dispatch_id 0
		.amdhsa_user_sgpr_flat_scratch_init 0
		.amdhsa_user_sgpr_private_segment_size 0
		.amdhsa_uses_dynamic_stack 0
		.amdhsa_system_sgpr_private_segment_wavefront_offset 0
		.amdhsa_system_sgpr_workgroup_id_x 1
		.amdhsa_system_sgpr_workgroup_id_y 0
		.amdhsa_system_sgpr_workgroup_id_z 0
		.amdhsa_system_sgpr_workgroup_info 0
		.amdhsa_system_vgpr_workitem_id 0
		.amdhsa_next_free_vgpr 1
		.amdhsa_next_free_sgpr 0
		.amdhsa_reserve_vcc 0
		.amdhsa_reserve_flat_scratch 0
		.amdhsa_float_round_mode_32 0
		.amdhsa_float_round_mode_16_64 0
		.amdhsa_float_denorm_mode_32 3
		.amdhsa_float_denorm_mode_16_64 3
		.amdhsa_dx10_clamp 1
		.amdhsa_ieee_mode 1
		.amdhsa_fp16_overflow 0
		.amdhsa_exception_fp_ieee_invalid_op 0
		.amdhsa_exception_fp_denorm_src 0
		.amdhsa_exception_fp_ieee_div_zero 0
		.amdhsa_exception_fp_ieee_overflow 0
		.amdhsa_exception_fp_ieee_underflow 0
		.amdhsa_exception_fp_ieee_inexact 0
		.amdhsa_exception_int_div_zero 0
	.end_amdhsa_kernel
	.section	.text._ZN7rocprim17ROCPRIM_400000_NS6detail17trampoline_kernelINS0_14default_configENS1_22reduce_config_selectorI4bboxEEZNS1_11reduce_implILb1ES3_PS5_S8_S5_14bbox_reductionEE10hipError_tPvRmT1_T2_T3_mT4_P12ihipStream_tbEUlT_E0_NS1_11comp_targetILNS1_3genE4ELNS1_11target_archE910ELNS1_3gpuE8ELNS1_3repE0EEENS1_30default_config_static_selectorELNS0_4arch9wavefront6targetE1EEEvSD_,"axG",@progbits,_ZN7rocprim17ROCPRIM_400000_NS6detail17trampoline_kernelINS0_14default_configENS1_22reduce_config_selectorI4bboxEEZNS1_11reduce_implILb1ES3_PS5_S8_S5_14bbox_reductionEE10hipError_tPvRmT1_T2_T3_mT4_P12ihipStream_tbEUlT_E0_NS1_11comp_targetILNS1_3genE4ELNS1_11target_archE910ELNS1_3gpuE8ELNS1_3repE0EEENS1_30default_config_static_selectorELNS0_4arch9wavefront6targetE1EEEvSD_,comdat
.Lfunc_end4:
	.size	_ZN7rocprim17ROCPRIM_400000_NS6detail17trampoline_kernelINS0_14default_configENS1_22reduce_config_selectorI4bboxEEZNS1_11reduce_implILb1ES3_PS5_S8_S5_14bbox_reductionEE10hipError_tPvRmT1_T2_T3_mT4_P12ihipStream_tbEUlT_E0_NS1_11comp_targetILNS1_3genE4ELNS1_11target_archE910ELNS1_3gpuE8ELNS1_3repE0EEENS1_30default_config_static_selectorELNS0_4arch9wavefront6targetE1EEEvSD_, .Lfunc_end4-_ZN7rocprim17ROCPRIM_400000_NS6detail17trampoline_kernelINS0_14default_configENS1_22reduce_config_selectorI4bboxEEZNS1_11reduce_implILb1ES3_PS5_S8_S5_14bbox_reductionEE10hipError_tPvRmT1_T2_T3_mT4_P12ihipStream_tbEUlT_E0_NS1_11comp_targetILNS1_3genE4ELNS1_11target_archE910ELNS1_3gpuE8ELNS1_3repE0EEENS1_30default_config_static_selectorELNS0_4arch9wavefront6targetE1EEEvSD_
                                        ; -- End function
	.set _ZN7rocprim17ROCPRIM_400000_NS6detail17trampoline_kernelINS0_14default_configENS1_22reduce_config_selectorI4bboxEEZNS1_11reduce_implILb1ES3_PS5_S8_S5_14bbox_reductionEE10hipError_tPvRmT1_T2_T3_mT4_P12ihipStream_tbEUlT_E0_NS1_11comp_targetILNS1_3genE4ELNS1_11target_archE910ELNS1_3gpuE8ELNS1_3repE0EEENS1_30default_config_static_selectorELNS0_4arch9wavefront6targetE1EEEvSD_.num_vgpr, 0
	.set _ZN7rocprim17ROCPRIM_400000_NS6detail17trampoline_kernelINS0_14default_configENS1_22reduce_config_selectorI4bboxEEZNS1_11reduce_implILb1ES3_PS5_S8_S5_14bbox_reductionEE10hipError_tPvRmT1_T2_T3_mT4_P12ihipStream_tbEUlT_E0_NS1_11comp_targetILNS1_3genE4ELNS1_11target_archE910ELNS1_3gpuE8ELNS1_3repE0EEENS1_30default_config_static_selectorELNS0_4arch9wavefront6targetE1EEEvSD_.num_agpr, 0
	.set _ZN7rocprim17ROCPRIM_400000_NS6detail17trampoline_kernelINS0_14default_configENS1_22reduce_config_selectorI4bboxEEZNS1_11reduce_implILb1ES3_PS5_S8_S5_14bbox_reductionEE10hipError_tPvRmT1_T2_T3_mT4_P12ihipStream_tbEUlT_E0_NS1_11comp_targetILNS1_3genE4ELNS1_11target_archE910ELNS1_3gpuE8ELNS1_3repE0EEENS1_30default_config_static_selectorELNS0_4arch9wavefront6targetE1EEEvSD_.numbered_sgpr, 0
	.set _ZN7rocprim17ROCPRIM_400000_NS6detail17trampoline_kernelINS0_14default_configENS1_22reduce_config_selectorI4bboxEEZNS1_11reduce_implILb1ES3_PS5_S8_S5_14bbox_reductionEE10hipError_tPvRmT1_T2_T3_mT4_P12ihipStream_tbEUlT_E0_NS1_11comp_targetILNS1_3genE4ELNS1_11target_archE910ELNS1_3gpuE8ELNS1_3repE0EEENS1_30default_config_static_selectorELNS0_4arch9wavefront6targetE1EEEvSD_.num_named_barrier, 0
	.set _ZN7rocprim17ROCPRIM_400000_NS6detail17trampoline_kernelINS0_14default_configENS1_22reduce_config_selectorI4bboxEEZNS1_11reduce_implILb1ES3_PS5_S8_S5_14bbox_reductionEE10hipError_tPvRmT1_T2_T3_mT4_P12ihipStream_tbEUlT_E0_NS1_11comp_targetILNS1_3genE4ELNS1_11target_archE910ELNS1_3gpuE8ELNS1_3repE0EEENS1_30default_config_static_selectorELNS0_4arch9wavefront6targetE1EEEvSD_.private_seg_size, 0
	.set _ZN7rocprim17ROCPRIM_400000_NS6detail17trampoline_kernelINS0_14default_configENS1_22reduce_config_selectorI4bboxEEZNS1_11reduce_implILb1ES3_PS5_S8_S5_14bbox_reductionEE10hipError_tPvRmT1_T2_T3_mT4_P12ihipStream_tbEUlT_E0_NS1_11comp_targetILNS1_3genE4ELNS1_11target_archE910ELNS1_3gpuE8ELNS1_3repE0EEENS1_30default_config_static_selectorELNS0_4arch9wavefront6targetE1EEEvSD_.uses_vcc, 0
	.set _ZN7rocprim17ROCPRIM_400000_NS6detail17trampoline_kernelINS0_14default_configENS1_22reduce_config_selectorI4bboxEEZNS1_11reduce_implILb1ES3_PS5_S8_S5_14bbox_reductionEE10hipError_tPvRmT1_T2_T3_mT4_P12ihipStream_tbEUlT_E0_NS1_11comp_targetILNS1_3genE4ELNS1_11target_archE910ELNS1_3gpuE8ELNS1_3repE0EEENS1_30default_config_static_selectorELNS0_4arch9wavefront6targetE1EEEvSD_.uses_flat_scratch, 0
	.set _ZN7rocprim17ROCPRIM_400000_NS6detail17trampoline_kernelINS0_14default_configENS1_22reduce_config_selectorI4bboxEEZNS1_11reduce_implILb1ES3_PS5_S8_S5_14bbox_reductionEE10hipError_tPvRmT1_T2_T3_mT4_P12ihipStream_tbEUlT_E0_NS1_11comp_targetILNS1_3genE4ELNS1_11target_archE910ELNS1_3gpuE8ELNS1_3repE0EEENS1_30default_config_static_selectorELNS0_4arch9wavefront6targetE1EEEvSD_.has_dyn_sized_stack, 0
	.set _ZN7rocprim17ROCPRIM_400000_NS6detail17trampoline_kernelINS0_14default_configENS1_22reduce_config_selectorI4bboxEEZNS1_11reduce_implILb1ES3_PS5_S8_S5_14bbox_reductionEE10hipError_tPvRmT1_T2_T3_mT4_P12ihipStream_tbEUlT_E0_NS1_11comp_targetILNS1_3genE4ELNS1_11target_archE910ELNS1_3gpuE8ELNS1_3repE0EEENS1_30default_config_static_selectorELNS0_4arch9wavefront6targetE1EEEvSD_.has_recursion, 0
	.set _ZN7rocprim17ROCPRIM_400000_NS6detail17trampoline_kernelINS0_14default_configENS1_22reduce_config_selectorI4bboxEEZNS1_11reduce_implILb1ES3_PS5_S8_S5_14bbox_reductionEE10hipError_tPvRmT1_T2_T3_mT4_P12ihipStream_tbEUlT_E0_NS1_11comp_targetILNS1_3genE4ELNS1_11target_archE910ELNS1_3gpuE8ELNS1_3repE0EEENS1_30default_config_static_selectorELNS0_4arch9wavefront6targetE1EEEvSD_.has_indirect_call, 0
	.section	.AMDGPU.csdata,"",@progbits
; Kernel info:
; codeLenInByte = 0
; TotalNumSgprs: 4
; NumVgprs: 0
; ScratchSize: 0
; MemoryBound: 0
; FloatMode: 240
; IeeeMode: 1
; LDSByteSize: 0 bytes/workgroup (compile time only)
; SGPRBlocks: 0
; VGPRBlocks: 0
; NumSGPRsForWavesPerEU: 4
; NumVGPRsForWavesPerEU: 1
; Occupancy: 10
; WaveLimiterHint : 0
; COMPUTE_PGM_RSRC2:SCRATCH_EN: 0
; COMPUTE_PGM_RSRC2:USER_SGPR: 6
; COMPUTE_PGM_RSRC2:TRAP_HANDLER: 0
; COMPUTE_PGM_RSRC2:TGID_X_EN: 1
; COMPUTE_PGM_RSRC2:TGID_Y_EN: 0
; COMPUTE_PGM_RSRC2:TGID_Z_EN: 0
; COMPUTE_PGM_RSRC2:TIDIG_COMP_CNT: 0
	.section	.text._ZN7rocprim17ROCPRIM_400000_NS6detail17trampoline_kernelINS0_14default_configENS1_22reduce_config_selectorI4bboxEEZNS1_11reduce_implILb1ES3_PS5_S8_S5_14bbox_reductionEE10hipError_tPvRmT1_T2_T3_mT4_P12ihipStream_tbEUlT_E0_NS1_11comp_targetILNS1_3genE3ELNS1_11target_archE908ELNS1_3gpuE7ELNS1_3repE0EEENS1_30default_config_static_selectorELNS0_4arch9wavefront6targetE1EEEvSD_,"axG",@progbits,_ZN7rocprim17ROCPRIM_400000_NS6detail17trampoline_kernelINS0_14default_configENS1_22reduce_config_selectorI4bboxEEZNS1_11reduce_implILb1ES3_PS5_S8_S5_14bbox_reductionEE10hipError_tPvRmT1_T2_T3_mT4_P12ihipStream_tbEUlT_E0_NS1_11comp_targetILNS1_3genE3ELNS1_11target_archE908ELNS1_3gpuE7ELNS1_3repE0EEENS1_30default_config_static_selectorELNS0_4arch9wavefront6targetE1EEEvSD_,comdat
	.protected	_ZN7rocprim17ROCPRIM_400000_NS6detail17trampoline_kernelINS0_14default_configENS1_22reduce_config_selectorI4bboxEEZNS1_11reduce_implILb1ES3_PS5_S8_S5_14bbox_reductionEE10hipError_tPvRmT1_T2_T3_mT4_P12ihipStream_tbEUlT_E0_NS1_11comp_targetILNS1_3genE3ELNS1_11target_archE908ELNS1_3gpuE7ELNS1_3repE0EEENS1_30default_config_static_selectorELNS0_4arch9wavefront6targetE1EEEvSD_ ; -- Begin function _ZN7rocprim17ROCPRIM_400000_NS6detail17trampoline_kernelINS0_14default_configENS1_22reduce_config_selectorI4bboxEEZNS1_11reduce_implILb1ES3_PS5_S8_S5_14bbox_reductionEE10hipError_tPvRmT1_T2_T3_mT4_P12ihipStream_tbEUlT_E0_NS1_11comp_targetILNS1_3genE3ELNS1_11target_archE908ELNS1_3gpuE7ELNS1_3repE0EEENS1_30default_config_static_selectorELNS0_4arch9wavefront6targetE1EEEvSD_
	.globl	_ZN7rocprim17ROCPRIM_400000_NS6detail17trampoline_kernelINS0_14default_configENS1_22reduce_config_selectorI4bboxEEZNS1_11reduce_implILb1ES3_PS5_S8_S5_14bbox_reductionEE10hipError_tPvRmT1_T2_T3_mT4_P12ihipStream_tbEUlT_E0_NS1_11comp_targetILNS1_3genE3ELNS1_11target_archE908ELNS1_3gpuE7ELNS1_3repE0EEENS1_30default_config_static_selectorELNS0_4arch9wavefront6targetE1EEEvSD_
	.p2align	8
	.type	_ZN7rocprim17ROCPRIM_400000_NS6detail17trampoline_kernelINS0_14default_configENS1_22reduce_config_selectorI4bboxEEZNS1_11reduce_implILb1ES3_PS5_S8_S5_14bbox_reductionEE10hipError_tPvRmT1_T2_T3_mT4_P12ihipStream_tbEUlT_E0_NS1_11comp_targetILNS1_3genE3ELNS1_11target_archE908ELNS1_3gpuE7ELNS1_3repE0EEENS1_30default_config_static_selectorELNS0_4arch9wavefront6targetE1EEEvSD_,@function
_ZN7rocprim17ROCPRIM_400000_NS6detail17trampoline_kernelINS0_14default_configENS1_22reduce_config_selectorI4bboxEEZNS1_11reduce_implILb1ES3_PS5_S8_S5_14bbox_reductionEE10hipError_tPvRmT1_T2_T3_mT4_P12ihipStream_tbEUlT_E0_NS1_11comp_targetILNS1_3genE3ELNS1_11target_archE908ELNS1_3gpuE7ELNS1_3repE0EEENS1_30default_config_static_selectorELNS0_4arch9wavefront6targetE1EEEvSD_: ; @_ZN7rocprim17ROCPRIM_400000_NS6detail17trampoline_kernelINS0_14default_configENS1_22reduce_config_selectorI4bboxEEZNS1_11reduce_implILb1ES3_PS5_S8_S5_14bbox_reductionEE10hipError_tPvRmT1_T2_T3_mT4_P12ihipStream_tbEUlT_E0_NS1_11comp_targetILNS1_3genE3ELNS1_11target_archE908ELNS1_3gpuE7ELNS1_3repE0EEENS1_30default_config_static_selectorELNS0_4arch9wavefront6targetE1EEEvSD_
; %bb.0:
	.section	.rodata,"a",@progbits
	.p2align	6, 0x0
	.amdhsa_kernel _ZN7rocprim17ROCPRIM_400000_NS6detail17trampoline_kernelINS0_14default_configENS1_22reduce_config_selectorI4bboxEEZNS1_11reduce_implILb1ES3_PS5_S8_S5_14bbox_reductionEE10hipError_tPvRmT1_T2_T3_mT4_P12ihipStream_tbEUlT_E0_NS1_11comp_targetILNS1_3genE3ELNS1_11target_archE908ELNS1_3gpuE7ELNS1_3repE0EEENS1_30default_config_static_selectorELNS0_4arch9wavefront6targetE1EEEvSD_
		.amdhsa_group_segment_fixed_size 0
		.amdhsa_private_segment_fixed_size 0
		.amdhsa_kernarg_size 72
		.amdhsa_user_sgpr_count 6
		.amdhsa_user_sgpr_private_segment_buffer 1
		.amdhsa_user_sgpr_dispatch_ptr 0
		.amdhsa_user_sgpr_queue_ptr 0
		.amdhsa_user_sgpr_kernarg_segment_ptr 1
		.amdhsa_user_sgpr_dispatch_id 0
		.amdhsa_user_sgpr_flat_scratch_init 0
		.amdhsa_user_sgpr_private_segment_size 0
		.amdhsa_uses_dynamic_stack 0
		.amdhsa_system_sgpr_private_segment_wavefront_offset 0
		.amdhsa_system_sgpr_workgroup_id_x 1
		.amdhsa_system_sgpr_workgroup_id_y 0
		.amdhsa_system_sgpr_workgroup_id_z 0
		.amdhsa_system_sgpr_workgroup_info 0
		.amdhsa_system_vgpr_workitem_id 0
		.amdhsa_next_free_vgpr 1
		.amdhsa_next_free_sgpr 0
		.amdhsa_reserve_vcc 0
		.amdhsa_reserve_flat_scratch 0
		.amdhsa_float_round_mode_32 0
		.amdhsa_float_round_mode_16_64 0
		.amdhsa_float_denorm_mode_32 3
		.amdhsa_float_denorm_mode_16_64 3
		.amdhsa_dx10_clamp 1
		.amdhsa_ieee_mode 1
		.amdhsa_fp16_overflow 0
		.amdhsa_exception_fp_ieee_invalid_op 0
		.amdhsa_exception_fp_denorm_src 0
		.amdhsa_exception_fp_ieee_div_zero 0
		.amdhsa_exception_fp_ieee_overflow 0
		.amdhsa_exception_fp_ieee_underflow 0
		.amdhsa_exception_fp_ieee_inexact 0
		.amdhsa_exception_int_div_zero 0
	.end_amdhsa_kernel
	.section	.text._ZN7rocprim17ROCPRIM_400000_NS6detail17trampoline_kernelINS0_14default_configENS1_22reduce_config_selectorI4bboxEEZNS1_11reduce_implILb1ES3_PS5_S8_S5_14bbox_reductionEE10hipError_tPvRmT1_T2_T3_mT4_P12ihipStream_tbEUlT_E0_NS1_11comp_targetILNS1_3genE3ELNS1_11target_archE908ELNS1_3gpuE7ELNS1_3repE0EEENS1_30default_config_static_selectorELNS0_4arch9wavefront6targetE1EEEvSD_,"axG",@progbits,_ZN7rocprim17ROCPRIM_400000_NS6detail17trampoline_kernelINS0_14default_configENS1_22reduce_config_selectorI4bboxEEZNS1_11reduce_implILb1ES3_PS5_S8_S5_14bbox_reductionEE10hipError_tPvRmT1_T2_T3_mT4_P12ihipStream_tbEUlT_E0_NS1_11comp_targetILNS1_3genE3ELNS1_11target_archE908ELNS1_3gpuE7ELNS1_3repE0EEENS1_30default_config_static_selectorELNS0_4arch9wavefront6targetE1EEEvSD_,comdat
.Lfunc_end5:
	.size	_ZN7rocprim17ROCPRIM_400000_NS6detail17trampoline_kernelINS0_14default_configENS1_22reduce_config_selectorI4bboxEEZNS1_11reduce_implILb1ES3_PS5_S8_S5_14bbox_reductionEE10hipError_tPvRmT1_T2_T3_mT4_P12ihipStream_tbEUlT_E0_NS1_11comp_targetILNS1_3genE3ELNS1_11target_archE908ELNS1_3gpuE7ELNS1_3repE0EEENS1_30default_config_static_selectorELNS0_4arch9wavefront6targetE1EEEvSD_, .Lfunc_end5-_ZN7rocprim17ROCPRIM_400000_NS6detail17trampoline_kernelINS0_14default_configENS1_22reduce_config_selectorI4bboxEEZNS1_11reduce_implILb1ES3_PS5_S8_S5_14bbox_reductionEE10hipError_tPvRmT1_T2_T3_mT4_P12ihipStream_tbEUlT_E0_NS1_11comp_targetILNS1_3genE3ELNS1_11target_archE908ELNS1_3gpuE7ELNS1_3repE0EEENS1_30default_config_static_selectorELNS0_4arch9wavefront6targetE1EEEvSD_
                                        ; -- End function
	.set _ZN7rocprim17ROCPRIM_400000_NS6detail17trampoline_kernelINS0_14default_configENS1_22reduce_config_selectorI4bboxEEZNS1_11reduce_implILb1ES3_PS5_S8_S5_14bbox_reductionEE10hipError_tPvRmT1_T2_T3_mT4_P12ihipStream_tbEUlT_E0_NS1_11comp_targetILNS1_3genE3ELNS1_11target_archE908ELNS1_3gpuE7ELNS1_3repE0EEENS1_30default_config_static_selectorELNS0_4arch9wavefront6targetE1EEEvSD_.num_vgpr, 0
	.set _ZN7rocprim17ROCPRIM_400000_NS6detail17trampoline_kernelINS0_14default_configENS1_22reduce_config_selectorI4bboxEEZNS1_11reduce_implILb1ES3_PS5_S8_S5_14bbox_reductionEE10hipError_tPvRmT1_T2_T3_mT4_P12ihipStream_tbEUlT_E0_NS1_11comp_targetILNS1_3genE3ELNS1_11target_archE908ELNS1_3gpuE7ELNS1_3repE0EEENS1_30default_config_static_selectorELNS0_4arch9wavefront6targetE1EEEvSD_.num_agpr, 0
	.set _ZN7rocprim17ROCPRIM_400000_NS6detail17trampoline_kernelINS0_14default_configENS1_22reduce_config_selectorI4bboxEEZNS1_11reduce_implILb1ES3_PS5_S8_S5_14bbox_reductionEE10hipError_tPvRmT1_T2_T3_mT4_P12ihipStream_tbEUlT_E0_NS1_11comp_targetILNS1_3genE3ELNS1_11target_archE908ELNS1_3gpuE7ELNS1_3repE0EEENS1_30default_config_static_selectorELNS0_4arch9wavefront6targetE1EEEvSD_.numbered_sgpr, 0
	.set _ZN7rocprim17ROCPRIM_400000_NS6detail17trampoline_kernelINS0_14default_configENS1_22reduce_config_selectorI4bboxEEZNS1_11reduce_implILb1ES3_PS5_S8_S5_14bbox_reductionEE10hipError_tPvRmT1_T2_T3_mT4_P12ihipStream_tbEUlT_E0_NS1_11comp_targetILNS1_3genE3ELNS1_11target_archE908ELNS1_3gpuE7ELNS1_3repE0EEENS1_30default_config_static_selectorELNS0_4arch9wavefront6targetE1EEEvSD_.num_named_barrier, 0
	.set _ZN7rocprim17ROCPRIM_400000_NS6detail17trampoline_kernelINS0_14default_configENS1_22reduce_config_selectorI4bboxEEZNS1_11reduce_implILb1ES3_PS5_S8_S5_14bbox_reductionEE10hipError_tPvRmT1_T2_T3_mT4_P12ihipStream_tbEUlT_E0_NS1_11comp_targetILNS1_3genE3ELNS1_11target_archE908ELNS1_3gpuE7ELNS1_3repE0EEENS1_30default_config_static_selectorELNS0_4arch9wavefront6targetE1EEEvSD_.private_seg_size, 0
	.set _ZN7rocprim17ROCPRIM_400000_NS6detail17trampoline_kernelINS0_14default_configENS1_22reduce_config_selectorI4bboxEEZNS1_11reduce_implILb1ES3_PS5_S8_S5_14bbox_reductionEE10hipError_tPvRmT1_T2_T3_mT4_P12ihipStream_tbEUlT_E0_NS1_11comp_targetILNS1_3genE3ELNS1_11target_archE908ELNS1_3gpuE7ELNS1_3repE0EEENS1_30default_config_static_selectorELNS0_4arch9wavefront6targetE1EEEvSD_.uses_vcc, 0
	.set _ZN7rocprim17ROCPRIM_400000_NS6detail17trampoline_kernelINS0_14default_configENS1_22reduce_config_selectorI4bboxEEZNS1_11reduce_implILb1ES3_PS5_S8_S5_14bbox_reductionEE10hipError_tPvRmT1_T2_T3_mT4_P12ihipStream_tbEUlT_E0_NS1_11comp_targetILNS1_3genE3ELNS1_11target_archE908ELNS1_3gpuE7ELNS1_3repE0EEENS1_30default_config_static_selectorELNS0_4arch9wavefront6targetE1EEEvSD_.uses_flat_scratch, 0
	.set _ZN7rocprim17ROCPRIM_400000_NS6detail17trampoline_kernelINS0_14default_configENS1_22reduce_config_selectorI4bboxEEZNS1_11reduce_implILb1ES3_PS5_S8_S5_14bbox_reductionEE10hipError_tPvRmT1_T2_T3_mT4_P12ihipStream_tbEUlT_E0_NS1_11comp_targetILNS1_3genE3ELNS1_11target_archE908ELNS1_3gpuE7ELNS1_3repE0EEENS1_30default_config_static_selectorELNS0_4arch9wavefront6targetE1EEEvSD_.has_dyn_sized_stack, 0
	.set _ZN7rocprim17ROCPRIM_400000_NS6detail17trampoline_kernelINS0_14default_configENS1_22reduce_config_selectorI4bboxEEZNS1_11reduce_implILb1ES3_PS5_S8_S5_14bbox_reductionEE10hipError_tPvRmT1_T2_T3_mT4_P12ihipStream_tbEUlT_E0_NS1_11comp_targetILNS1_3genE3ELNS1_11target_archE908ELNS1_3gpuE7ELNS1_3repE0EEENS1_30default_config_static_selectorELNS0_4arch9wavefront6targetE1EEEvSD_.has_recursion, 0
	.set _ZN7rocprim17ROCPRIM_400000_NS6detail17trampoline_kernelINS0_14default_configENS1_22reduce_config_selectorI4bboxEEZNS1_11reduce_implILb1ES3_PS5_S8_S5_14bbox_reductionEE10hipError_tPvRmT1_T2_T3_mT4_P12ihipStream_tbEUlT_E0_NS1_11comp_targetILNS1_3genE3ELNS1_11target_archE908ELNS1_3gpuE7ELNS1_3repE0EEENS1_30default_config_static_selectorELNS0_4arch9wavefront6targetE1EEEvSD_.has_indirect_call, 0
	.section	.AMDGPU.csdata,"",@progbits
; Kernel info:
; codeLenInByte = 0
; TotalNumSgprs: 4
; NumVgprs: 0
; ScratchSize: 0
; MemoryBound: 0
; FloatMode: 240
; IeeeMode: 1
; LDSByteSize: 0 bytes/workgroup (compile time only)
; SGPRBlocks: 0
; VGPRBlocks: 0
; NumSGPRsForWavesPerEU: 4
; NumVGPRsForWavesPerEU: 1
; Occupancy: 10
; WaveLimiterHint : 0
; COMPUTE_PGM_RSRC2:SCRATCH_EN: 0
; COMPUTE_PGM_RSRC2:USER_SGPR: 6
; COMPUTE_PGM_RSRC2:TRAP_HANDLER: 0
; COMPUTE_PGM_RSRC2:TGID_X_EN: 1
; COMPUTE_PGM_RSRC2:TGID_Y_EN: 0
; COMPUTE_PGM_RSRC2:TGID_Z_EN: 0
; COMPUTE_PGM_RSRC2:TIDIG_COMP_CNT: 0
	.section	.text._ZN7rocprim17ROCPRIM_400000_NS6detail17trampoline_kernelINS0_14default_configENS1_22reduce_config_selectorI4bboxEEZNS1_11reduce_implILb1ES3_PS5_S8_S5_14bbox_reductionEE10hipError_tPvRmT1_T2_T3_mT4_P12ihipStream_tbEUlT_E0_NS1_11comp_targetILNS1_3genE2ELNS1_11target_archE906ELNS1_3gpuE6ELNS1_3repE0EEENS1_30default_config_static_selectorELNS0_4arch9wavefront6targetE1EEEvSD_,"axG",@progbits,_ZN7rocprim17ROCPRIM_400000_NS6detail17trampoline_kernelINS0_14default_configENS1_22reduce_config_selectorI4bboxEEZNS1_11reduce_implILb1ES3_PS5_S8_S5_14bbox_reductionEE10hipError_tPvRmT1_T2_T3_mT4_P12ihipStream_tbEUlT_E0_NS1_11comp_targetILNS1_3genE2ELNS1_11target_archE906ELNS1_3gpuE6ELNS1_3repE0EEENS1_30default_config_static_selectorELNS0_4arch9wavefront6targetE1EEEvSD_,comdat
	.protected	_ZN7rocprim17ROCPRIM_400000_NS6detail17trampoline_kernelINS0_14default_configENS1_22reduce_config_selectorI4bboxEEZNS1_11reduce_implILb1ES3_PS5_S8_S5_14bbox_reductionEE10hipError_tPvRmT1_T2_T3_mT4_P12ihipStream_tbEUlT_E0_NS1_11comp_targetILNS1_3genE2ELNS1_11target_archE906ELNS1_3gpuE6ELNS1_3repE0EEENS1_30default_config_static_selectorELNS0_4arch9wavefront6targetE1EEEvSD_ ; -- Begin function _ZN7rocprim17ROCPRIM_400000_NS6detail17trampoline_kernelINS0_14default_configENS1_22reduce_config_selectorI4bboxEEZNS1_11reduce_implILb1ES3_PS5_S8_S5_14bbox_reductionEE10hipError_tPvRmT1_T2_T3_mT4_P12ihipStream_tbEUlT_E0_NS1_11comp_targetILNS1_3genE2ELNS1_11target_archE906ELNS1_3gpuE6ELNS1_3repE0EEENS1_30default_config_static_selectorELNS0_4arch9wavefront6targetE1EEEvSD_
	.globl	_ZN7rocprim17ROCPRIM_400000_NS6detail17trampoline_kernelINS0_14default_configENS1_22reduce_config_selectorI4bboxEEZNS1_11reduce_implILb1ES3_PS5_S8_S5_14bbox_reductionEE10hipError_tPvRmT1_T2_T3_mT4_P12ihipStream_tbEUlT_E0_NS1_11comp_targetILNS1_3genE2ELNS1_11target_archE906ELNS1_3gpuE6ELNS1_3repE0EEENS1_30default_config_static_selectorELNS0_4arch9wavefront6targetE1EEEvSD_
	.p2align	8
	.type	_ZN7rocprim17ROCPRIM_400000_NS6detail17trampoline_kernelINS0_14default_configENS1_22reduce_config_selectorI4bboxEEZNS1_11reduce_implILb1ES3_PS5_S8_S5_14bbox_reductionEE10hipError_tPvRmT1_T2_T3_mT4_P12ihipStream_tbEUlT_E0_NS1_11comp_targetILNS1_3genE2ELNS1_11target_archE906ELNS1_3gpuE6ELNS1_3repE0EEENS1_30default_config_static_selectorELNS0_4arch9wavefront6targetE1EEEvSD_,@function
_ZN7rocprim17ROCPRIM_400000_NS6detail17trampoline_kernelINS0_14default_configENS1_22reduce_config_selectorI4bboxEEZNS1_11reduce_implILb1ES3_PS5_S8_S5_14bbox_reductionEE10hipError_tPvRmT1_T2_T3_mT4_P12ihipStream_tbEUlT_E0_NS1_11comp_targetILNS1_3genE2ELNS1_11target_archE906ELNS1_3gpuE6ELNS1_3repE0EEENS1_30default_config_static_selectorELNS0_4arch9wavefront6targetE1EEEvSD_: ; @_ZN7rocprim17ROCPRIM_400000_NS6detail17trampoline_kernelINS0_14default_configENS1_22reduce_config_selectorI4bboxEEZNS1_11reduce_implILb1ES3_PS5_S8_S5_14bbox_reductionEE10hipError_tPvRmT1_T2_T3_mT4_P12ihipStream_tbEUlT_E0_NS1_11comp_targetILNS1_3genE2ELNS1_11target_archE906ELNS1_3gpuE6ELNS1_3repE0EEENS1_30default_config_static_selectorELNS0_4arch9wavefront6targetE1EEEvSD_
; %bb.0:
	s_load_dwordx8 s[8:15], s[4:5], 0x0
	s_load_dwordx4 s[0:3], s[4:5], 0x20
	v_lshlrev_b32_e32 v6, 4, v0
	v_mbcnt_lo_u32_b32 v5, -1, 0
	s_waitcnt lgkmcnt(0)
	s_lshl_b64 s[10:11], s[10:11], 4
	s_add_u32 s18, s8, s10
	s_addc_u32 s19, s9, s11
	s_lshl_b32 s10, s6, 8
	s_mov_b32 s11, 0
	s_lshr_b64 s[16:17], s[12:13], 8
	s_lshl_b64 s[8:9], s[10:11], 4
	s_add_u32 s8, s18, s8
	s_mov_b32 s7, s11
	s_addc_u32 s9, s19, s9
	s_cmp_lg_u64 s[16:17], s[6:7]
	s_cbranch_scc0 .LBB6_6
; %bb.1:
	global_load_dwordx4 v[1:4], v6, s[8:9]
	global_load_dwordx4 v[9:12], v6, s[8:9] offset:2048
	v_mbcnt_hi_u32_b32 v7, -1, v5
	v_lshlrev_b32_e32 v8, 2, v7
	v_or_b32_e32 v13, 0xfc, v8
	s_waitcnt vmcnt(0)
	v_cmp_lt_f32_e32 vcc, v9, v1
	v_cndmask_b32_e32 v1, v1, v9, vcc
	v_cmp_lt_f32_e32 vcc, v10, v2
	v_cndmask_b32_e32 v2, v2, v10, vcc
	;; [unrolled: 2-line block ×3, first 2 shown]
	v_cmp_lt_f32_e32 vcc, v4, v12
	v_mov_b32_dpp v9, v1 quad_perm:[1,0,3,2] row_mask:0xf bank_mask:0xf bound_ctrl:1
	v_cndmask_b32_e32 v4, v4, v12, vcc
	v_mov_b32_dpp v10, v2 quad_perm:[1,0,3,2] row_mask:0xf bank_mask:0xf bound_ctrl:1
	v_cmp_lt_f32_e32 vcc, v1, v9
	v_mov_b32_dpp v11, v3 quad_perm:[1,0,3,2] row_mask:0xf bank_mask:0xf bound_ctrl:1
	v_cndmask_b32_e32 v1, v9, v1, vcc
	v_cmp_lt_f32_e32 vcc, v2, v10
	v_mov_b32_dpp v12, v4 quad_perm:[1,0,3,2] row_mask:0xf bank_mask:0xf bound_ctrl:1
	v_cndmask_b32_e32 v2, v10, v2, vcc
	v_cmp_gt_f32_e32 vcc, v3, v11
	v_cndmask_b32_e32 v3, v11, v3, vcc
	v_cmp_gt_f32_e32 vcc, v4, v12
	v_mov_b32_dpp v9, v1 quad_perm:[2,3,0,1] row_mask:0xf bank_mask:0xf bound_ctrl:1
	v_cndmask_b32_e32 v4, v12, v4, vcc
	v_mov_b32_dpp v10, v2 quad_perm:[2,3,0,1] row_mask:0xf bank_mask:0xf bound_ctrl:1
	v_cmp_lt_f32_e32 vcc, v1, v9
	v_mov_b32_dpp v11, v3 quad_perm:[2,3,0,1] row_mask:0xf bank_mask:0xf bound_ctrl:1
	v_cndmask_b32_e32 v1, v9, v1, vcc
	v_cmp_lt_f32_e32 vcc, v2, v10
	v_mov_b32_dpp v12, v4 quad_perm:[2,3,0,1] row_mask:0xf bank_mask:0xf bound_ctrl:1
	v_cndmask_b32_e32 v2, v10, v2, vcc
	v_cmp_gt_f32_e32 vcc, v3, v11
	v_cndmask_b32_e32 v3, v11, v3, vcc
	v_cmp_gt_f32_e32 vcc, v4, v12
	v_mov_b32_dpp v9, v1 row_ror:4 row_mask:0xf bank_mask:0xf bound_ctrl:1
	v_cndmask_b32_e32 v4, v12, v4, vcc
	v_mov_b32_dpp v10, v2 row_ror:4 row_mask:0xf bank_mask:0xf bound_ctrl:1
	v_cmp_lt_f32_e32 vcc, v1, v9
	v_mov_b32_dpp v11, v3 row_ror:4 row_mask:0xf bank_mask:0xf bound_ctrl:1
	v_cndmask_b32_e32 v1, v9, v1, vcc
	v_cmp_lt_f32_e32 vcc, v2, v10
	v_mov_b32_dpp v12, v4 row_ror:4 row_mask:0xf bank_mask:0xf bound_ctrl:1
	v_cndmask_b32_e32 v2, v10, v2, vcc
	v_cmp_gt_f32_e32 vcc, v3, v11
	v_cndmask_b32_e32 v3, v11, v3, vcc
	v_cmp_gt_f32_e32 vcc, v4, v12
	v_mov_b32_dpp v9, v1 row_ror:8 row_mask:0xf bank_mask:0xf bound_ctrl:1
	v_cndmask_b32_e32 v4, v12, v4, vcc
	v_mov_b32_dpp v10, v2 row_ror:8 row_mask:0xf bank_mask:0xf bound_ctrl:1
	v_cmp_lt_f32_e32 vcc, v1, v9
	v_mov_b32_dpp v11, v3 row_ror:8 row_mask:0xf bank_mask:0xf bound_ctrl:1
	v_cndmask_b32_e32 v1, v9, v1, vcc
	v_cmp_lt_f32_e32 vcc, v2, v10
	v_mov_b32_dpp v12, v4 row_ror:8 row_mask:0xf bank_mask:0xf bound_ctrl:1
	v_cndmask_b32_e32 v2, v10, v2, vcc
	v_cmp_gt_f32_e32 vcc, v3, v11
	v_cndmask_b32_e32 v3, v11, v3, vcc
	v_cmp_gt_f32_e32 vcc, v4, v12
	v_mov_b32_dpp v9, v1 row_bcast:15 row_mask:0xf bank_mask:0xf bound_ctrl:1
	v_cndmask_b32_e32 v4, v12, v4, vcc
	v_mov_b32_dpp v10, v2 row_bcast:15 row_mask:0xf bank_mask:0xf bound_ctrl:1
	v_cmp_lt_f32_e32 vcc, v1, v9
	v_mov_b32_dpp v11, v3 row_bcast:15 row_mask:0xf bank_mask:0xf bound_ctrl:1
	v_cndmask_b32_e32 v1, v9, v1, vcc
	v_cmp_lt_f32_e32 vcc, v2, v10
	v_mov_b32_dpp v12, v4 row_bcast:15 row_mask:0xf bank_mask:0xf bound_ctrl:1
	v_cndmask_b32_e32 v2, v10, v2, vcc
	v_cmp_gt_f32_e32 vcc, v3, v11
	v_cndmask_b32_e32 v3, v11, v3, vcc
	v_cmp_gt_f32_e32 vcc, v4, v12
	v_mov_b32_dpp v9, v1 row_bcast:31 row_mask:0xf bank_mask:0xf bound_ctrl:1
	v_cndmask_b32_e32 v4, v12, v4, vcc
	v_mov_b32_dpp v10, v2 row_bcast:31 row_mask:0xf bank_mask:0xf bound_ctrl:1
	v_cmp_lt_f32_e32 vcc, v1, v9
	v_mov_b32_dpp v11, v3 row_bcast:31 row_mask:0xf bank_mask:0xf bound_ctrl:1
	v_cndmask_b32_e32 v1, v9, v1, vcc
	v_cmp_lt_f32_e32 vcc, v2, v10
	v_mov_b32_dpp v12, v4 row_bcast:31 row_mask:0xf bank_mask:0xf bound_ctrl:1
	v_cndmask_b32_e32 v2, v10, v2, vcc
	v_cmp_gt_f32_e32 vcc, v3, v11
	v_cndmask_b32_e32 v3, v11, v3, vcc
	v_cmp_gt_f32_e32 vcc, v4, v12
	v_cndmask_b32_e32 v4, v12, v4, vcc
	ds_bpermute_b32 v1, v13, v1
	ds_bpermute_b32 v2, v13, v2
	ds_bpermute_b32 v3, v13, v3
	ds_bpermute_b32 v4, v13, v4
	v_cmp_eq_u32_e32 vcc, 0, v7
	s_and_saveexec_b64 s[16:17], vcc
	s_cbranch_execz .LBB6_3
; %bb.2:
	v_lshrrev_b32_e32 v9, 2, v0
	v_and_b32_e32 v9, 16, v9
	s_waitcnt lgkmcnt(0)
	ds_write2_b64 v9, v[1:2], v[3:4] offset0:4 offset1:5
.LBB6_3:
	s_or_b64 exec, exec, s[16:17]
	v_cmp_gt_u32_e32 vcc, 64, v0
	s_waitcnt lgkmcnt(0)
	s_barrier
	s_and_saveexec_b64 s[16:17], vcc
	s_cbranch_execz .LBB6_5
; %bb.4:
	v_and_b32_e32 v1, 1, v7
	v_lshlrev_b32_e32 v1, 4, v1
	ds_read2_b64 v[1:4], v1 offset0:4 offset1:5
	v_or_b32_e32 v7, 4, v8
	s_waitcnt lgkmcnt(0)
	ds_bpermute_b32 v8, v7, v1
	ds_bpermute_b32 v9, v7, v2
	;; [unrolled: 1-line block ×4, first 2 shown]
	s_waitcnt lgkmcnt(3)
	v_cmp_gt_f32_e32 vcc, v1, v8
	v_cndmask_b32_e32 v1, v1, v8, vcc
	s_waitcnt lgkmcnt(2)
	v_cmp_gt_f32_e32 vcc, v2, v9
	v_cndmask_b32_e32 v2, v2, v9, vcc
	s_waitcnt lgkmcnt(1)
	v_cmp_lt_f32_e32 vcc, v3, v10
	v_cndmask_b32_e32 v3, v3, v10, vcc
	s_waitcnt lgkmcnt(0)
	v_cmp_lt_f32_e32 vcc, v4, v7
	v_cndmask_b32_e32 v4, v4, v7, vcc
.LBB6_5:
	s_or_b64 exec, exec, s[16:17]
	s_branch .LBB6_30
.LBB6_6:
                                        ; implicit-def: $vgpr4
	s_cbranch_execz .LBB6_30
; %bb.7:
	s_sub_i32 s16, s12, s10
	v_cmp_gt_u32_e32 vcc, s16, v0
	v_mov_b32_e32 v4, 0
	v_mov_b32_e32 v3, 0
	v_mov_b32_e32 v2, 0
	v_mov_b32_e32 v1, 0
	s_and_saveexec_b64 s[10:11], vcc
	s_cbranch_execz .LBB6_9
; %bb.8:
	global_load_dwordx4 v[1:4], v6, s[8:9]
.LBB6_9:
	s_or_b64 exec, exec, s[10:11]
	v_or_b32_e32 v7, 0x80, v0
	v_cmp_gt_u32_e32 vcc, s16, v7
	s_and_saveexec_b64 s[10:11], vcc
	s_cbranch_execz .LBB6_11
; %bb.10:
	global_load_dwordx4 v[6:9], v6, s[8:9] offset:2048
	s_waitcnt vmcnt(0)
	v_cmp_lt_f32_e32 vcc, v6, v1
	v_cndmask_b32_e32 v1, v1, v6, vcc
	v_cmp_lt_f32_e32 vcc, v7, v2
	v_cndmask_b32_e32 v2, v2, v7, vcc
	;; [unrolled: 2-line block ×4, first 2 shown]
.LBB6_11:
	s_or_b64 exec, exec, s[10:11]
	v_mbcnt_hi_u32_b32 v5, -1, v5
	v_and_b32_e32 v6, 63, v5
	v_cmp_ne_u32_e32 vcc, 63, v6
	v_addc_co_u32_e32 v7, vcc, 0, v5, vcc
	v_lshlrev_b32_e32 v7, 2, v7
	s_waitcnt vmcnt(0)
	ds_bpermute_b32 v11, v7, v1
	ds_bpermute_b32 v10, v7, v2
	;; [unrolled: 1-line block ×4, first 2 shown]
	s_min_u32 s10, s16, 0x80
	v_and_b32_e32 v7, 64, v0
	v_sub_u32_e64 v7, s10, v7 clamp
	v_add_u32_e32 v12, 1, v6
	v_cmp_lt_u32_e32 vcc, v12, v7
	s_and_saveexec_b64 s[8:9], vcc
	s_xor_b64 s[8:9], exec, s[8:9]
	s_cbranch_execz .LBB6_13
; %bb.12:
	s_waitcnt lgkmcnt(3)
	v_cmp_gt_f32_e32 vcc, v1, v11
	v_cndmask_b32_e32 v1, v1, v11, vcc
	s_waitcnt lgkmcnt(2)
	v_cmp_gt_f32_e32 vcc, v2, v10
	v_cndmask_b32_e32 v2, v2, v10, vcc
	s_waitcnt lgkmcnt(1)
	v_cmp_lt_f32_e32 vcc, v3, v9
	v_cndmask_b32_e32 v3, v3, v9, vcc
	s_waitcnt lgkmcnt(0)
	v_cmp_lt_f32_e32 vcc, v4, v8
	v_cndmask_b32_e32 v4, v4, v8, vcc
.LBB6_13:
	s_or_b64 exec, exec, s[8:9]
	v_cmp_gt_u32_e32 vcc, 62, v6
	s_waitcnt lgkmcnt(0)
	v_cndmask_b32_e64 v8, 0, 2, vcc
	v_add_lshl_u32 v8, v8, v5, 2
	ds_bpermute_b32 v11, v8, v1
	ds_bpermute_b32 v10, v8, v2
	ds_bpermute_b32 v9, v8, v3
	ds_bpermute_b32 v8, v8, v4
	v_add_u32_e32 v12, 2, v6
	v_cmp_lt_u32_e32 vcc, v12, v7
	s_and_saveexec_b64 s[8:9], vcc
	s_cbranch_execz .LBB6_15
; %bb.14:
	s_waitcnt lgkmcnt(3)
	v_cmp_gt_f32_e32 vcc, v1, v11
	v_cndmask_b32_e32 v1, v1, v11, vcc
	s_waitcnt lgkmcnt(2)
	v_cmp_gt_f32_e32 vcc, v2, v10
	v_cndmask_b32_e32 v2, v2, v10, vcc
	s_waitcnt lgkmcnt(1)
	v_cmp_lt_f32_e32 vcc, v3, v9
	v_cndmask_b32_e32 v3, v3, v9, vcc
	s_waitcnt lgkmcnt(0)
	v_cmp_lt_f32_e32 vcc, v4, v8
	v_cndmask_b32_e32 v4, v4, v8, vcc
.LBB6_15:
	s_or_b64 exec, exec, s[8:9]
	v_cmp_gt_u32_e32 vcc, 60, v6
	s_waitcnt lgkmcnt(0)
	v_cndmask_b32_e64 v8, 0, 4, vcc
	v_add_lshl_u32 v8, v8, v5, 2
	ds_bpermute_b32 v11, v8, v1
	ds_bpermute_b32 v10, v8, v2
	ds_bpermute_b32 v9, v8, v3
	ds_bpermute_b32 v8, v8, v4
	v_add_u32_e32 v12, 4, v6
	v_cmp_lt_u32_e32 vcc, v12, v7
	s_and_saveexec_b64 s[8:9], vcc
	;; [unrolled: 27-line block ×4, first 2 shown]
	s_cbranch_execz .LBB6_21
; %bb.20:
	s_waitcnt lgkmcnt(3)
	v_cmp_gt_f32_e32 vcc, v1, v11
	v_cndmask_b32_e32 v1, v1, v11, vcc
	s_waitcnt lgkmcnt(2)
	v_cmp_gt_f32_e32 vcc, v2, v10
	v_cndmask_b32_e32 v2, v2, v10, vcc
	s_waitcnt lgkmcnt(1)
	v_cmp_lt_f32_e32 vcc, v3, v9
	v_cndmask_b32_e32 v3, v3, v9, vcc
	s_waitcnt lgkmcnt(0)
	v_cmp_lt_f32_e32 vcc, v4, v8
	v_cndmask_b32_e32 v4, v4, v8, vcc
.LBB6_21:
	s_or_b64 exec, exec, s[8:9]
	s_waitcnt lgkmcnt(0)
	v_lshlrev_b32_e32 v8, 2, v5
	v_or_b32_e32 v9, 0x80, v8
	ds_bpermute_b32 v12, v9, v1
	ds_bpermute_b32 v11, v9, v2
	;; [unrolled: 1-line block ×4, first 2 shown]
	v_add_u32_e32 v6, 32, v6
	v_cmp_lt_u32_e32 vcc, v6, v7
	s_and_saveexec_b64 s[8:9], vcc
	s_cbranch_execz .LBB6_23
; %bb.22:
	s_waitcnt lgkmcnt(3)
	v_cmp_gt_f32_e32 vcc, v1, v12
	v_cndmask_b32_e32 v1, v1, v12, vcc
	s_waitcnt lgkmcnt(2)
	v_cmp_gt_f32_e32 vcc, v2, v11
	v_cndmask_b32_e32 v2, v2, v11, vcc
	s_waitcnt lgkmcnt(1)
	v_cmp_lt_f32_e32 vcc, v3, v10
	v_cndmask_b32_e32 v3, v3, v10, vcc
	s_waitcnt lgkmcnt(0)
	v_cmp_lt_f32_e32 vcc, v4, v9
	v_cndmask_b32_e32 v4, v4, v9, vcc
.LBB6_23:
	s_or_b64 exec, exec, s[8:9]
	v_cmp_eq_u32_e32 vcc, 0, v5
	s_and_saveexec_b64 s[8:9], vcc
; %bb.24:
	v_lshrrev_b32_e32 v6, 2, v0
	v_and_b32_e32 v6, 16, v6
	ds_write2_b64 v6, v[1:2], v[3:4] offset1:1
; %bb.25:
	s_or_b64 exec, exec, s[8:9]
	v_cmp_gt_u32_e32 vcc, 2, v0
	s_waitcnt lgkmcnt(0)
	s_barrier
	s_and_saveexec_b64 s[8:9], vcc
	s_cbranch_execz .LBB6_29
; %bb.26:
	v_lshlrev_b32_e32 v1, 4, v5
	ds_read2_b64 v[1:4], v1 offset1:1
	v_or_b32_e32 v6, 4, v8
	s_add_i32 s10, s10, 63
	v_and_b32_e32 v5, 1, v5
	s_lshr_b32 s10, s10, 6
	s_waitcnt lgkmcnt(0)
	ds_bpermute_b32 v9, v6, v1
	ds_bpermute_b32 v8, v6, v2
	ds_bpermute_b32 v7, v6, v3
	ds_bpermute_b32 v6, v6, v4
	v_add_u32_e32 v5, 1, v5
	v_cmp_gt_u32_e32 vcc, s10, v5
	s_and_saveexec_b64 s[10:11], vcc
	s_cbranch_execz .LBB6_28
; %bb.27:
	s_waitcnt lgkmcnt(3)
	v_cmp_gt_f32_e32 vcc, v1, v9
	v_cndmask_b32_e32 v1, v1, v9, vcc
	s_waitcnt lgkmcnt(2)
	v_cmp_gt_f32_e32 vcc, v2, v8
	v_cndmask_b32_e32 v2, v2, v8, vcc
	s_waitcnt lgkmcnt(1)
	v_cmp_lt_f32_e32 vcc, v3, v7
	v_cndmask_b32_e32 v3, v3, v7, vcc
	s_waitcnt lgkmcnt(0)
	v_cmp_lt_f32_e32 vcc, v4, v6
	v_cndmask_b32_e32 v4, v4, v6, vcc
.LBB6_28:
	s_or_b64 exec, exec, s[10:11]
.LBB6_29:
	s_or_b64 exec, exec, s[8:9]
.LBB6_30:
	s_load_dwordx4 s[8:11], s[4:5], 0x30
	v_cmp_eq_u32_e32 vcc, 0, v0
	s_and_saveexec_b64 s[4:5], vcc
	s_cbranch_execnz .LBB6_32
; %bb.31:
	s_endpgm
.LBB6_32:
	s_mul_i32 s1, s2, s1
	s_mul_hi_u32 s4, s2, s0
	s_add_i32 s1, s4, s1
	s_mul_i32 s3, s3, s0
	s_add_i32 s1, s1, s3
	s_mul_i32 s0, s2, s0
	s_lshl_b64 s[0:1], s[0:1], 4
	s_add_u32 s2, s14, s0
	s_addc_u32 s3, s15, s1
	s_cmp_eq_u64 s[12:13], 0
	s_waitcnt lgkmcnt(0)
	v_mov_b32_e32 v0, s11
	s_cselect_b64 vcc, -1, 0
	v_cndmask_b32_e32 v4, v4, v0, vcc
	v_mov_b32_e32 v0, s10
	v_cndmask_b32_e32 v3, v3, v0, vcc
	v_mov_b32_e32 v0, s9
	s_lshl_b64 s[0:1], s[6:7], 4
	v_cndmask_b32_e32 v2, v2, v0, vcc
	v_mov_b32_e32 v0, s8
	s_add_u32 s0, s2, s0
	v_cndmask_b32_e32 v1, v1, v0, vcc
	s_addc_u32 s1, s3, s1
	v_mov_b32_e32 v0, 0
	global_store_dwordx4 v0, v[1:4], s[0:1]
	s_endpgm
	.section	.rodata,"a",@progbits
	.p2align	6, 0x0
	.amdhsa_kernel _ZN7rocprim17ROCPRIM_400000_NS6detail17trampoline_kernelINS0_14default_configENS1_22reduce_config_selectorI4bboxEEZNS1_11reduce_implILb1ES3_PS5_S8_S5_14bbox_reductionEE10hipError_tPvRmT1_T2_T3_mT4_P12ihipStream_tbEUlT_E0_NS1_11comp_targetILNS1_3genE2ELNS1_11target_archE906ELNS1_3gpuE6ELNS1_3repE0EEENS1_30default_config_static_selectorELNS0_4arch9wavefront6targetE1EEEvSD_
		.amdhsa_group_segment_fixed_size 64
		.amdhsa_private_segment_fixed_size 0
		.amdhsa_kernarg_size 72
		.amdhsa_user_sgpr_count 6
		.amdhsa_user_sgpr_private_segment_buffer 1
		.amdhsa_user_sgpr_dispatch_ptr 0
		.amdhsa_user_sgpr_queue_ptr 0
		.amdhsa_user_sgpr_kernarg_segment_ptr 1
		.amdhsa_user_sgpr_dispatch_id 0
		.amdhsa_user_sgpr_flat_scratch_init 0
		.amdhsa_user_sgpr_private_segment_size 0
		.amdhsa_uses_dynamic_stack 0
		.amdhsa_system_sgpr_private_segment_wavefront_offset 0
		.amdhsa_system_sgpr_workgroup_id_x 1
		.amdhsa_system_sgpr_workgroup_id_y 0
		.amdhsa_system_sgpr_workgroup_id_z 0
		.amdhsa_system_sgpr_workgroup_info 0
		.amdhsa_system_vgpr_workitem_id 0
		.amdhsa_next_free_vgpr 14
		.amdhsa_next_free_sgpr 20
		.amdhsa_reserve_vcc 1
		.amdhsa_reserve_flat_scratch 0
		.amdhsa_float_round_mode_32 0
		.amdhsa_float_round_mode_16_64 0
		.amdhsa_float_denorm_mode_32 3
		.amdhsa_float_denorm_mode_16_64 3
		.amdhsa_dx10_clamp 1
		.amdhsa_ieee_mode 1
		.amdhsa_fp16_overflow 0
		.amdhsa_exception_fp_ieee_invalid_op 0
		.amdhsa_exception_fp_denorm_src 0
		.amdhsa_exception_fp_ieee_div_zero 0
		.amdhsa_exception_fp_ieee_overflow 0
		.amdhsa_exception_fp_ieee_underflow 0
		.amdhsa_exception_fp_ieee_inexact 0
		.amdhsa_exception_int_div_zero 0
	.end_amdhsa_kernel
	.section	.text._ZN7rocprim17ROCPRIM_400000_NS6detail17trampoline_kernelINS0_14default_configENS1_22reduce_config_selectorI4bboxEEZNS1_11reduce_implILb1ES3_PS5_S8_S5_14bbox_reductionEE10hipError_tPvRmT1_T2_T3_mT4_P12ihipStream_tbEUlT_E0_NS1_11comp_targetILNS1_3genE2ELNS1_11target_archE906ELNS1_3gpuE6ELNS1_3repE0EEENS1_30default_config_static_selectorELNS0_4arch9wavefront6targetE1EEEvSD_,"axG",@progbits,_ZN7rocprim17ROCPRIM_400000_NS6detail17trampoline_kernelINS0_14default_configENS1_22reduce_config_selectorI4bboxEEZNS1_11reduce_implILb1ES3_PS5_S8_S5_14bbox_reductionEE10hipError_tPvRmT1_T2_T3_mT4_P12ihipStream_tbEUlT_E0_NS1_11comp_targetILNS1_3genE2ELNS1_11target_archE906ELNS1_3gpuE6ELNS1_3repE0EEENS1_30default_config_static_selectorELNS0_4arch9wavefront6targetE1EEEvSD_,comdat
.Lfunc_end6:
	.size	_ZN7rocprim17ROCPRIM_400000_NS6detail17trampoline_kernelINS0_14default_configENS1_22reduce_config_selectorI4bboxEEZNS1_11reduce_implILb1ES3_PS5_S8_S5_14bbox_reductionEE10hipError_tPvRmT1_T2_T3_mT4_P12ihipStream_tbEUlT_E0_NS1_11comp_targetILNS1_3genE2ELNS1_11target_archE906ELNS1_3gpuE6ELNS1_3repE0EEENS1_30default_config_static_selectorELNS0_4arch9wavefront6targetE1EEEvSD_, .Lfunc_end6-_ZN7rocprim17ROCPRIM_400000_NS6detail17trampoline_kernelINS0_14default_configENS1_22reduce_config_selectorI4bboxEEZNS1_11reduce_implILb1ES3_PS5_S8_S5_14bbox_reductionEE10hipError_tPvRmT1_T2_T3_mT4_P12ihipStream_tbEUlT_E0_NS1_11comp_targetILNS1_3genE2ELNS1_11target_archE906ELNS1_3gpuE6ELNS1_3repE0EEENS1_30default_config_static_selectorELNS0_4arch9wavefront6targetE1EEEvSD_
                                        ; -- End function
	.set _ZN7rocprim17ROCPRIM_400000_NS6detail17trampoline_kernelINS0_14default_configENS1_22reduce_config_selectorI4bboxEEZNS1_11reduce_implILb1ES3_PS5_S8_S5_14bbox_reductionEE10hipError_tPvRmT1_T2_T3_mT4_P12ihipStream_tbEUlT_E0_NS1_11comp_targetILNS1_3genE2ELNS1_11target_archE906ELNS1_3gpuE6ELNS1_3repE0EEENS1_30default_config_static_selectorELNS0_4arch9wavefront6targetE1EEEvSD_.num_vgpr, 14
	.set _ZN7rocprim17ROCPRIM_400000_NS6detail17trampoline_kernelINS0_14default_configENS1_22reduce_config_selectorI4bboxEEZNS1_11reduce_implILb1ES3_PS5_S8_S5_14bbox_reductionEE10hipError_tPvRmT1_T2_T3_mT4_P12ihipStream_tbEUlT_E0_NS1_11comp_targetILNS1_3genE2ELNS1_11target_archE906ELNS1_3gpuE6ELNS1_3repE0EEENS1_30default_config_static_selectorELNS0_4arch9wavefront6targetE1EEEvSD_.num_agpr, 0
	.set _ZN7rocprim17ROCPRIM_400000_NS6detail17trampoline_kernelINS0_14default_configENS1_22reduce_config_selectorI4bboxEEZNS1_11reduce_implILb1ES3_PS5_S8_S5_14bbox_reductionEE10hipError_tPvRmT1_T2_T3_mT4_P12ihipStream_tbEUlT_E0_NS1_11comp_targetILNS1_3genE2ELNS1_11target_archE906ELNS1_3gpuE6ELNS1_3repE0EEENS1_30default_config_static_selectorELNS0_4arch9wavefront6targetE1EEEvSD_.numbered_sgpr, 20
	.set _ZN7rocprim17ROCPRIM_400000_NS6detail17trampoline_kernelINS0_14default_configENS1_22reduce_config_selectorI4bboxEEZNS1_11reduce_implILb1ES3_PS5_S8_S5_14bbox_reductionEE10hipError_tPvRmT1_T2_T3_mT4_P12ihipStream_tbEUlT_E0_NS1_11comp_targetILNS1_3genE2ELNS1_11target_archE906ELNS1_3gpuE6ELNS1_3repE0EEENS1_30default_config_static_selectorELNS0_4arch9wavefront6targetE1EEEvSD_.num_named_barrier, 0
	.set _ZN7rocprim17ROCPRIM_400000_NS6detail17trampoline_kernelINS0_14default_configENS1_22reduce_config_selectorI4bboxEEZNS1_11reduce_implILb1ES3_PS5_S8_S5_14bbox_reductionEE10hipError_tPvRmT1_T2_T3_mT4_P12ihipStream_tbEUlT_E0_NS1_11comp_targetILNS1_3genE2ELNS1_11target_archE906ELNS1_3gpuE6ELNS1_3repE0EEENS1_30default_config_static_selectorELNS0_4arch9wavefront6targetE1EEEvSD_.private_seg_size, 0
	.set _ZN7rocprim17ROCPRIM_400000_NS6detail17trampoline_kernelINS0_14default_configENS1_22reduce_config_selectorI4bboxEEZNS1_11reduce_implILb1ES3_PS5_S8_S5_14bbox_reductionEE10hipError_tPvRmT1_T2_T3_mT4_P12ihipStream_tbEUlT_E0_NS1_11comp_targetILNS1_3genE2ELNS1_11target_archE906ELNS1_3gpuE6ELNS1_3repE0EEENS1_30default_config_static_selectorELNS0_4arch9wavefront6targetE1EEEvSD_.uses_vcc, 1
	.set _ZN7rocprim17ROCPRIM_400000_NS6detail17trampoline_kernelINS0_14default_configENS1_22reduce_config_selectorI4bboxEEZNS1_11reduce_implILb1ES3_PS5_S8_S5_14bbox_reductionEE10hipError_tPvRmT1_T2_T3_mT4_P12ihipStream_tbEUlT_E0_NS1_11comp_targetILNS1_3genE2ELNS1_11target_archE906ELNS1_3gpuE6ELNS1_3repE0EEENS1_30default_config_static_selectorELNS0_4arch9wavefront6targetE1EEEvSD_.uses_flat_scratch, 0
	.set _ZN7rocprim17ROCPRIM_400000_NS6detail17trampoline_kernelINS0_14default_configENS1_22reduce_config_selectorI4bboxEEZNS1_11reduce_implILb1ES3_PS5_S8_S5_14bbox_reductionEE10hipError_tPvRmT1_T2_T3_mT4_P12ihipStream_tbEUlT_E0_NS1_11comp_targetILNS1_3genE2ELNS1_11target_archE906ELNS1_3gpuE6ELNS1_3repE0EEENS1_30default_config_static_selectorELNS0_4arch9wavefront6targetE1EEEvSD_.has_dyn_sized_stack, 0
	.set _ZN7rocprim17ROCPRIM_400000_NS6detail17trampoline_kernelINS0_14default_configENS1_22reduce_config_selectorI4bboxEEZNS1_11reduce_implILb1ES3_PS5_S8_S5_14bbox_reductionEE10hipError_tPvRmT1_T2_T3_mT4_P12ihipStream_tbEUlT_E0_NS1_11comp_targetILNS1_3genE2ELNS1_11target_archE906ELNS1_3gpuE6ELNS1_3repE0EEENS1_30default_config_static_selectorELNS0_4arch9wavefront6targetE1EEEvSD_.has_recursion, 0
	.set _ZN7rocprim17ROCPRIM_400000_NS6detail17trampoline_kernelINS0_14default_configENS1_22reduce_config_selectorI4bboxEEZNS1_11reduce_implILb1ES3_PS5_S8_S5_14bbox_reductionEE10hipError_tPvRmT1_T2_T3_mT4_P12ihipStream_tbEUlT_E0_NS1_11comp_targetILNS1_3genE2ELNS1_11target_archE906ELNS1_3gpuE6ELNS1_3repE0EEENS1_30default_config_static_selectorELNS0_4arch9wavefront6targetE1EEEvSD_.has_indirect_call, 0
	.section	.AMDGPU.csdata,"",@progbits
; Kernel info:
; codeLenInByte = 1932
; TotalNumSgprs: 24
; NumVgprs: 14
; ScratchSize: 0
; MemoryBound: 0
; FloatMode: 240
; IeeeMode: 1
; LDSByteSize: 64 bytes/workgroup (compile time only)
; SGPRBlocks: 2
; VGPRBlocks: 3
; NumSGPRsForWavesPerEU: 24
; NumVGPRsForWavesPerEU: 14
; Occupancy: 10
; WaveLimiterHint : 1
; COMPUTE_PGM_RSRC2:SCRATCH_EN: 0
; COMPUTE_PGM_RSRC2:USER_SGPR: 6
; COMPUTE_PGM_RSRC2:TRAP_HANDLER: 0
; COMPUTE_PGM_RSRC2:TGID_X_EN: 1
; COMPUTE_PGM_RSRC2:TGID_Y_EN: 0
; COMPUTE_PGM_RSRC2:TGID_Z_EN: 0
; COMPUTE_PGM_RSRC2:TIDIG_COMP_CNT: 0
	.section	.text._ZN7rocprim17ROCPRIM_400000_NS6detail17trampoline_kernelINS0_14default_configENS1_22reduce_config_selectorI4bboxEEZNS1_11reduce_implILb1ES3_PS5_S8_S5_14bbox_reductionEE10hipError_tPvRmT1_T2_T3_mT4_P12ihipStream_tbEUlT_E0_NS1_11comp_targetILNS1_3genE10ELNS1_11target_archE1201ELNS1_3gpuE5ELNS1_3repE0EEENS1_30default_config_static_selectorELNS0_4arch9wavefront6targetE1EEEvSD_,"axG",@progbits,_ZN7rocprim17ROCPRIM_400000_NS6detail17trampoline_kernelINS0_14default_configENS1_22reduce_config_selectorI4bboxEEZNS1_11reduce_implILb1ES3_PS5_S8_S5_14bbox_reductionEE10hipError_tPvRmT1_T2_T3_mT4_P12ihipStream_tbEUlT_E0_NS1_11comp_targetILNS1_3genE10ELNS1_11target_archE1201ELNS1_3gpuE5ELNS1_3repE0EEENS1_30default_config_static_selectorELNS0_4arch9wavefront6targetE1EEEvSD_,comdat
	.protected	_ZN7rocprim17ROCPRIM_400000_NS6detail17trampoline_kernelINS0_14default_configENS1_22reduce_config_selectorI4bboxEEZNS1_11reduce_implILb1ES3_PS5_S8_S5_14bbox_reductionEE10hipError_tPvRmT1_T2_T3_mT4_P12ihipStream_tbEUlT_E0_NS1_11comp_targetILNS1_3genE10ELNS1_11target_archE1201ELNS1_3gpuE5ELNS1_3repE0EEENS1_30default_config_static_selectorELNS0_4arch9wavefront6targetE1EEEvSD_ ; -- Begin function _ZN7rocprim17ROCPRIM_400000_NS6detail17trampoline_kernelINS0_14default_configENS1_22reduce_config_selectorI4bboxEEZNS1_11reduce_implILb1ES3_PS5_S8_S5_14bbox_reductionEE10hipError_tPvRmT1_T2_T3_mT4_P12ihipStream_tbEUlT_E0_NS1_11comp_targetILNS1_3genE10ELNS1_11target_archE1201ELNS1_3gpuE5ELNS1_3repE0EEENS1_30default_config_static_selectorELNS0_4arch9wavefront6targetE1EEEvSD_
	.globl	_ZN7rocprim17ROCPRIM_400000_NS6detail17trampoline_kernelINS0_14default_configENS1_22reduce_config_selectorI4bboxEEZNS1_11reduce_implILb1ES3_PS5_S8_S5_14bbox_reductionEE10hipError_tPvRmT1_T2_T3_mT4_P12ihipStream_tbEUlT_E0_NS1_11comp_targetILNS1_3genE10ELNS1_11target_archE1201ELNS1_3gpuE5ELNS1_3repE0EEENS1_30default_config_static_selectorELNS0_4arch9wavefront6targetE1EEEvSD_
	.p2align	8
	.type	_ZN7rocprim17ROCPRIM_400000_NS6detail17trampoline_kernelINS0_14default_configENS1_22reduce_config_selectorI4bboxEEZNS1_11reduce_implILb1ES3_PS5_S8_S5_14bbox_reductionEE10hipError_tPvRmT1_T2_T3_mT4_P12ihipStream_tbEUlT_E0_NS1_11comp_targetILNS1_3genE10ELNS1_11target_archE1201ELNS1_3gpuE5ELNS1_3repE0EEENS1_30default_config_static_selectorELNS0_4arch9wavefront6targetE1EEEvSD_,@function
_ZN7rocprim17ROCPRIM_400000_NS6detail17trampoline_kernelINS0_14default_configENS1_22reduce_config_selectorI4bboxEEZNS1_11reduce_implILb1ES3_PS5_S8_S5_14bbox_reductionEE10hipError_tPvRmT1_T2_T3_mT4_P12ihipStream_tbEUlT_E0_NS1_11comp_targetILNS1_3genE10ELNS1_11target_archE1201ELNS1_3gpuE5ELNS1_3repE0EEENS1_30default_config_static_selectorELNS0_4arch9wavefront6targetE1EEEvSD_: ; @_ZN7rocprim17ROCPRIM_400000_NS6detail17trampoline_kernelINS0_14default_configENS1_22reduce_config_selectorI4bboxEEZNS1_11reduce_implILb1ES3_PS5_S8_S5_14bbox_reductionEE10hipError_tPvRmT1_T2_T3_mT4_P12ihipStream_tbEUlT_E0_NS1_11comp_targetILNS1_3genE10ELNS1_11target_archE1201ELNS1_3gpuE5ELNS1_3repE0EEENS1_30default_config_static_selectorELNS0_4arch9wavefront6targetE1EEEvSD_
; %bb.0:
	.section	.rodata,"a",@progbits
	.p2align	6, 0x0
	.amdhsa_kernel _ZN7rocprim17ROCPRIM_400000_NS6detail17trampoline_kernelINS0_14default_configENS1_22reduce_config_selectorI4bboxEEZNS1_11reduce_implILb1ES3_PS5_S8_S5_14bbox_reductionEE10hipError_tPvRmT1_T2_T3_mT4_P12ihipStream_tbEUlT_E0_NS1_11comp_targetILNS1_3genE10ELNS1_11target_archE1201ELNS1_3gpuE5ELNS1_3repE0EEENS1_30default_config_static_selectorELNS0_4arch9wavefront6targetE1EEEvSD_
		.amdhsa_group_segment_fixed_size 0
		.amdhsa_private_segment_fixed_size 0
		.amdhsa_kernarg_size 72
		.amdhsa_user_sgpr_count 6
		.amdhsa_user_sgpr_private_segment_buffer 1
		.amdhsa_user_sgpr_dispatch_ptr 0
		.amdhsa_user_sgpr_queue_ptr 0
		.amdhsa_user_sgpr_kernarg_segment_ptr 1
		.amdhsa_user_sgpr_dispatch_id 0
		.amdhsa_user_sgpr_flat_scratch_init 0
		.amdhsa_user_sgpr_private_segment_size 0
		.amdhsa_uses_dynamic_stack 0
		.amdhsa_system_sgpr_private_segment_wavefront_offset 0
		.amdhsa_system_sgpr_workgroup_id_x 1
		.amdhsa_system_sgpr_workgroup_id_y 0
		.amdhsa_system_sgpr_workgroup_id_z 0
		.amdhsa_system_sgpr_workgroup_info 0
		.amdhsa_system_vgpr_workitem_id 0
		.amdhsa_next_free_vgpr 1
		.amdhsa_next_free_sgpr 0
		.amdhsa_reserve_vcc 0
		.amdhsa_reserve_flat_scratch 0
		.amdhsa_float_round_mode_32 0
		.amdhsa_float_round_mode_16_64 0
		.amdhsa_float_denorm_mode_32 3
		.amdhsa_float_denorm_mode_16_64 3
		.amdhsa_dx10_clamp 1
		.amdhsa_ieee_mode 1
		.amdhsa_fp16_overflow 0
		.amdhsa_exception_fp_ieee_invalid_op 0
		.amdhsa_exception_fp_denorm_src 0
		.amdhsa_exception_fp_ieee_div_zero 0
		.amdhsa_exception_fp_ieee_overflow 0
		.amdhsa_exception_fp_ieee_underflow 0
		.amdhsa_exception_fp_ieee_inexact 0
		.amdhsa_exception_int_div_zero 0
	.end_amdhsa_kernel
	.section	.text._ZN7rocprim17ROCPRIM_400000_NS6detail17trampoline_kernelINS0_14default_configENS1_22reduce_config_selectorI4bboxEEZNS1_11reduce_implILb1ES3_PS5_S8_S5_14bbox_reductionEE10hipError_tPvRmT1_T2_T3_mT4_P12ihipStream_tbEUlT_E0_NS1_11comp_targetILNS1_3genE10ELNS1_11target_archE1201ELNS1_3gpuE5ELNS1_3repE0EEENS1_30default_config_static_selectorELNS0_4arch9wavefront6targetE1EEEvSD_,"axG",@progbits,_ZN7rocprim17ROCPRIM_400000_NS6detail17trampoline_kernelINS0_14default_configENS1_22reduce_config_selectorI4bboxEEZNS1_11reduce_implILb1ES3_PS5_S8_S5_14bbox_reductionEE10hipError_tPvRmT1_T2_T3_mT4_P12ihipStream_tbEUlT_E0_NS1_11comp_targetILNS1_3genE10ELNS1_11target_archE1201ELNS1_3gpuE5ELNS1_3repE0EEENS1_30default_config_static_selectorELNS0_4arch9wavefront6targetE1EEEvSD_,comdat
.Lfunc_end7:
	.size	_ZN7rocprim17ROCPRIM_400000_NS6detail17trampoline_kernelINS0_14default_configENS1_22reduce_config_selectorI4bboxEEZNS1_11reduce_implILb1ES3_PS5_S8_S5_14bbox_reductionEE10hipError_tPvRmT1_T2_T3_mT4_P12ihipStream_tbEUlT_E0_NS1_11comp_targetILNS1_3genE10ELNS1_11target_archE1201ELNS1_3gpuE5ELNS1_3repE0EEENS1_30default_config_static_selectorELNS0_4arch9wavefront6targetE1EEEvSD_, .Lfunc_end7-_ZN7rocprim17ROCPRIM_400000_NS6detail17trampoline_kernelINS0_14default_configENS1_22reduce_config_selectorI4bboxEEZNS1_11reduce_implILb1ES3_PS5_S8_S5_14bbox_reductionEE10hipError_tPvRmT1_T2_T3_mT4_P12ihipStream_tbEUlT_E0_NS1_11comp_targetILNS1_3genE10ELNS1_11target_archE1201ELNS1_3gpuE5ELNS1_3repE0EEENS1_30default_config_static_selectorELNS0_4arch9wavefront6targetE1EEEvSD_
                                        ; -- End function
	.set _ZN7rocprim17ROCPRIM_400000_NS6detail17trampoline_kernelINS0_14default_configENS1_22reduce_config_selectorI4bboxEEZNS1_11reduce_implILb1ES3_PS5_S8_S5_14bbox_reductionEE10hipError_tPvRmT1_T2_T3_mT4_P12ihipStream_tbEUlT_E0_NS1_11comp_targetILNS1_3genE10ELNS1_11target_archE1201ELNS1_3gpuE5ELNS1_3repE0EEENS1_30default_config_static_selectorELNS0_4arch9wavefront6targetE1EEEvSD_.num_vgpr, 0
	.set _ZN7rocprim17ROCPRIM_400000_NS6detail17trampoline_kernelINS0_14default_configENS1_22reduce_config_selectorI4bboxEEZNS1_11reduce_implILb1ES3_PS5_S8_S5_14bbox_reductionEE10hipError_tPvRmT1_T2_T3_mT4_P12ihipStream_tbEUlT_E0_NS1_11comp_targetILNS1_3genE10ELNS1_11target_archE1201ELNS1_3gpuE5ELNS1_3repE0EEENS1_30default_config_static_selectorELNS0_4arch9wavefront6targetE1EEEvSD_.num_agpr, 0
	.set _ZN7rocprim17ROCPRIM_400000_NS6detail17trampoline_kernelINS0_14default_configENS1_22reduce_config_selectorI4bboxEEZNS1_11reduce_implILb1ES3_PS5_S8_S5_14bbox_reductionEE10hipError_tPvRmT1_T2_T3_mT4_P12ihipStream_tbEUlT_E0_NS1_11comp_targetILNS1_3genE10ELNS1_11target_archE1201ELNS1_3gpuE5ELNS1_3repE0EEENS1_30default_config_static_selectorELNS0_4arch9wavefront6targetE1EEEvSD_.numbered_sgpr, 0
	.set _ZN7rocprim17ROCPRIM_400000_NS6detail17trampoline_kernelINS0_14default_configENS1_22reduce_config_selectorI4bboxEEZNS1_11reduce_implILb1ES3_PS5_S8_S5_14bbox_reductionEE10hipError_tPvRmT1_T2_T3_mT4_P12ihipStream_tbEUlT_E0_NS1_11comp_targetILNS1_3genE10ELNS1_11target_archE1201ELNS1_3gpuE5ELNS1_3repE0EEENS1_30default_config_static_selectorELNS0_4arch9wavefront6targetE1EEEvSD_.num_named_barrier, 0
	.set _ZN7rocprim17ROCPRIM_400000_NS6detail17trampoline_kernelINS0_14default_configENS1_22reduce_config_selectorI4bboxEEZNS1_11reduce_implILb1ES3_PS5_S8_S5_14bbox_reductionEE10hipError_tPvRmT1_T2_T3_mT4_P12ihipStream_tbEUlT_E0_NS1_11comp_targetILNS1_3genE10ELNS1_11target_archE1201ELNS1_3gpuE5ELNS1_3repE0EEENS1_30default_config_static_selectorELNS0_4arch9wavefront6targetE1EEEvSD_.private_seg_size, 0
	.set _ZN7rocprim17ROCPRIM_400000_NS6detail17trampoline_kernelINS0_14default_configENS1_22reduce_config_selectorI4bboxEEZNS1_11reduce_implILb1ES3_PS5_S8_S5_14bbox_reductionEE10hipError_tPvRmT1_T2_T3_mT4_P12ihipStream_tbEUlT_E0_NS1_11comp_targetILNS1_3genE10ELNS1_11target_archE1201ELNS1_3gpuE5ELNS1_3repE0EEENS1_30default_config_static_selectorELNS0_4arch9wavefront6targetE1EEEvSD_.uses_vcc, 0
	.set _ZN7rocprim17ROCPRIM_400000_NS6detail17trampoline_kernelINS0_14default_configENS1_22reduce_config_selectorI4bboxEEZNS1_11reduce_implILb1ES3_PS5_S8_S5_14bbox_reductionEE10hipError_tPvRmT1_T2_T3_mT4_P12ihipStream_tbEUlT_E0_NS1_11comp_targetILNS1_3genE10ELNS1_11target_archE1201ELNS1_3gpuE5ELNS1_3repE0EEENS1_30default_config_static_selectorELNS0_4arch9wavefront6targetE1EEEvSD_.uses_flat_scratch, 0
	.set _ZN7rocprim17ROCPRIM_400000_NS6detail17trampoline_kernelINS0_14default_configENS1_22reduce_config_selectorI4bboxEEZNS1_11reduce_implILb1ES3_PS5_S8_S5_14bbox_reductionEE10hipError_tPvRmT1_T2_T3_mT4_P12ihipStream_tbEUlT_E0_NS1_11comp_targetILNS1_3genE10ELNS1_11target_archE1201ELNS1_3gpuE5ELNS1_3repE0EEENS1_30default_config_static_selectorELNS0_4arch9wavefront6targetE1EEEvSD_.has_dyn_sized_stack, 0
	.set _ZN7rocprim17ROCPRIM_400000_NS6detail17trampoline_kernelINS0_14default_configENS1_22reduce_config_selectorI4bboxEEZNS1_11reduce_implILb1ES3_PS5_S8_S5_14bbox_reductionEE10hipError_tPvRmT1_T2_T3_mT4_P12ihipStream_tbEUlT_E0_NS1_11comp_targetILNS1_3genE10ELNS1_11target_archE1201ELNS1_3gpuE5ELNS1_3repE0EEENS1_30default_config_static_selectorELNS0_4arch9wavefront6targetE1EEEvSD_.has_recursion, 0
	.set _ZN7rocprim17ROCPRIM_400000_NS6detail17trampoline_kernelINS0_14default_configENS1_22reduce_config_selectorI4bboxEEZNS1_11reduce_implILb1ES3_PS5_S8_S5_14bbox_reductionEE10hipError_tPvRmT1_T2_T3_mT4_P12ihipStream_tbEUlT_E0_NS1_11comp_targetILNS1_3genE10ELNS1_11target_archE1201ELNS1_3gpuE5ELNS1_3repE0EEENS1_30default_config_static_selectorELNS0_4arch9wavefront6targetE1EEEvSD_.has_indirect_call, 0
	.section	.AMDGPU.csdata,"",@progbits
; Kernel info:
; codeLenInByte = 0
; TotalNumSgprs: 4
; NumVgprs: 0
; ScratchSize: 0
; MemoryBound: 0
; FloatMode: 240
; IeeeMode: 1
; LDSByteSize: 0 bytes/workgroup (compile time only)
; SGPRBlocks: 0
; VGPRBlocks: 0
; NumSGPRsForWavesPerEU: 4
; NumVGPRsForWavesPerEU: 1
; Occupancy: 10
; WaveLimiterHint : 0
; COMPUTE_PGM_RSRC2:SCRATCH_EN: 0
; COMPUTE_PGM_RSRC2:USER_SGPR: 6
; COMPUTE_PGM_RSRC2:TRAP_HANDLER: 0
; COMPUTE_PGM_RSRC2:TGID_X_EN: 1
; COMPUTE_PGM_RSRC2:TGID_Y_EN: 0
; COMPUTE_PGM_RSRC2:TGID_Z_EN: 0
; COMPUTE_PGM_RSRC2:TIDIG_COMP_CNT: 0
	.section	.text._ZN7rocprim17ROCPRIM_400000_NS6detail17trampoline_kernelINS0_14default_configENS1_22reduce_config_selectorI4bboxEEZNS1_11reduce_implILb1ES3_PS5_S8_S5_14bbox_reductionEE10hipError_tPvRmT1_T2_T3_mT4_P12ihipStream_tbEUlT_E0_NS1_11comp_targetILNS1_3genE10ELNS1_11target_archE1200ELNS1_3gpuE4ELNS1_3repE0EEENS1_30default_config_static_selectorELNS0_4arch9wavefront6targetE1EEEvSD_,"axG",@progbits,_ZN7rocprim17ROCPRIM_400000_NS6detail17trampoline_kernelINS0_14default_configENS1_22reduce_config_selectorI4bboxEEZNS1_11reduce_implILb1ES3_PS5_S8_S5_14bbox_reductionEE10hipError_tPvRmT1_T2_T3_mT4_P12ihipStream_tbEUlT_E0_NS1_11comp_targetILNS1_3genE10ELNS1_11target_archE1200ELNS1_3gpuE4ELNS1_3repE0EEENS1_30default_config_static_selectorELNS0_4arch9wavefront6targetE1EEEvSD_,comdat
	.protected	_ZN7rocprim17ROCPRIM_400000_NS6detail17trampoline_kernelINS0_14default_configENS1_22reduce_config_selectorI4bboxEEZNS1_11reduce_implILb1ES3_PS5_S8_S5_14bbox_reductionEE10hipError_tPvRmT1_T2_T3_mT4_P12ihipStream_tbEUlT_E0_NS1_11comp_targetILNS1_3genE10ELNS1_11target_archE1200ELNS1_3gpuE4ELNS1_3repE0EEENS1_30default_config_static_selectorELNS0_4arch9wavefront6targetE1EEEvSD_ ; -- Begin function _ZN7rocprim17ROCPRIM_400000_NS6detail17trampoline_kernelINS0_14default_configENS1_22reduce_config_selectorI4bboxEEZNS1_11reduce_implILb1ES3_PS5_S8_S5_14bbox_reductionEE10hipError_tPvRmT1_T2_T3_mT4_P12ihipStream_tbEUlT_E0_NS1_11comp_targetILNS1_3genE10ELNS1_11target_archE1200ELNS1_3gpuE4ELNS1_3repE0EEENS1_30default_config_static_selectorELNS0_4arch9wavefront6targetE1EEEvSD_
	.globl	_ZN7rocprim17ROCPRIM_400000_NS6detail17trampoline_kernelINS0_14default_configENS1_22reduce_config_selectorI4bboxEEZNS1_11reduce_implILb1ES3_PS5_S8_S5_14bbox_reductionEE10hipError_tPvRmT1_T2_T3_mT4_P12ihipStream_tbEUlT_E0_NS1_11comp_targetILNS1_3genE10ELNS1_11target_archE1200ELNS1_3gpuE4ELNS1_3repE0EEENS1_30default_config_static_selectorELNS0_4arch9wavefront6targetE1EEEvSD_
	.p2align	8
	.type	_ZN7rocprim17ROCPRIM_400000_NS6detail17trampoline_kernelINS0_14default_configENS1_22reduce_config_selectorI4bboxEEZNS1_11reduce_implILb1ES3_PS5_S8_S5_14bbox_reductionEE10hipError_tPvRmT1_T2_T3_mT4_P12ihipStream_tbEUlT_E0_NS1_11comp_targetILNS1_3genE10ELNS1_11target_archE1200ELNS1_3gpuE4ELNS1_3repE0EEENS1_30default_config_static_selectorELNS0_4arch9wavefront6targetE1EEEvSD_,@function
_ZN7rocprim17ROCPRIM_400000_NS6detail17trampoline_kernelINS0_14default_configENS1_22reduce_config_selectorI4bboxEEZNS1_11reduce_implILb1ES3_PS5_S8_S5_14bbox_reductionEE10hipError_tPvRmT1_T2_T3_mT4_P12ihipStream_tbEUlT_E0_NS1_11comp_targetILNS1_3genE10ELNS1_11target_archE1200ELNS1_3gpuE4ELNS1_3repE0EEENS1_30default_config_static_selectorELNS0_4arch9wavefront6targetE1EEEvSD_: ; @_ZN7rocprim17ROCPRIM_400000_NS6detail17trampoline_kernelINS0_14default_configENS1_22reduce_config_selectorI4bboxEEZNS1_11reduce_implILb1ES3_PS5_S8_S5_14bbox_reductionEE10hipError_tPvRmT1_T2_T3_mT4_P12ihipStream_tbEUlT_E0_NS1_11comp_targetILNS1_3genE10ELNS1_11target_archE1200ELNS1_3gpuE4ELNS1_3repE0EEENS1_30default_config_static_selectorELNS0_4arch9wavefront6targetE1EEEvSD_
; %bb.0:
	.section	.rodata,"a",@progbits
	.p2align	6, 0x0
	.amdhsa_kernel _ZN7rocprim17ROCPRIM_400000_NS6detail17trampoline_kernelINS0_14default_configENS1_22reduce_config_selectorI4bboxEEZNS1_11reduce_implILb1ES3_PS5_S8_S5_14bbox_reductionEE10hipError_tPvRmT1_T2_T3_mT4_P12ihipStream_tbEUlT_E0_NS1_11comp_targetILNS1_3genE10ELNS1_11target_archE1200ELNS1_3gpuE4ELNS1_3repE0EEENS1_30default_config_static_selectorELNS0_4arch9wavefront6targetE1EEEvSD_
		.amdhsa_group_segment_fixed_size 0
		.amdhsa_private_segment_fixed_size 0
		.amdhsa_kernarg_size 72
		.amdhsa_user_sgpr_count 6
		.amdhsa_user_sgpr_private_segment_buffer 1
		.amdhsa_user_sgpr_dispatch_ptr 0
		.amdhsa_user_sgpr_queue_ptr 0
		.amdhsa_user_sgpr_kernarg_segment_ptr 1
		.amdhsa_user_sgpr_dispatch_id 0
		.amdhsa_user_sgpr_flat_scratch_init 0
		.amdhsa_user_sgpr_private_segment_size 0
		.amdhsa_uses_dynamic_stack 0
		.amdhsa_system_sgpr_private_segment_wavefront_offset 0
		.amdhsa_system_sgpr_workgroup_id_x 1
		.amdhsa_system_sgpr_workgroup_id_y 0
		.amdhsa_system_sgpr_workgroup_id_z 0
		.amdhsa_system_sgpr_workgroup_info 0
		.amdhsa_system_vgpr_workitem_id 0
		.amdhsa_next_free_vgpr 1
		.amdhsa_next_free_sgpr 0
		.amdhsa_reserve_vcc 0
		.amdhsa_reserve_flat_scratch 0
		.amdhsa_float_round_mode_32 0
		.amdhsa_float_round_mode_16_64 0
		.amdhsa_float_denorm_mode_32 3
		.amdhsa_float_denorm_mode_16_64 3
		.amdhsa_dx10_clamp 1
		.amdhsa_ieee_mode 1
		.amdhsa_fp16_overflow 0
		.amdhsa_exception_fp_ieee_invalid_op 0
		.amdhsa_exception_fp_denorm_src 0
		.amdhsa_exception_fp_ieee_div_zero 0
		.amdhsa_exception_fp_ieee_overflow 0
		.amdhsa_exception_fp_ieee_underflow 0
		.amdhsa_exception_fp_ieee_inexact 0
		.amdhsa_exception_int_div_zero 0
	.end_amdhsa_kernel
	.section	.text._ZN7rocprim17ROCPRIM_400000_NS6detail17trampoline_kernelINS0_14default_configENS1_22reduce_config_selectorI4bboxEEZNS1_11reduce_implILb1ES3_PS5_S8_S5_14bbox_reductionEE10hipError_tPvRmT1_T2_T3_mT4_P12ihipStream_tbEUlT_E0_NS1_11comp_targetILNS1_3genE10ELNS1_11target_archE1200ELNS1_3gpuE4ELNS1_3repE0EEENS1_30default_config_static_selectorELNS0_4arch9wavefront6targetE1EEEvSD_,"axG",@progbits,_ZN7rocprim17ROCPRIM_400000_NS6detail17trampoline_kernelINS0_14default_configENS1_22reduce_config_selectorI4bboxEEZNS1_11reduce_implILb1ES3_PS5_S8_S5_14bbox_reductionEE10hipError_tPvRmT1_T2_T3_mT4_P12ihipStream_tbEUlT_E0_NS1_11comp_targetILNS1_3genE10ELNS1_11target_archE1200ELNS1_3gpuE4ELNS1_3repE0EEENS1_30default_config_static_selectorELNS0_4arch9wavefront6targetE1EEEvSD_,comdat
.Lfunc_end8:
	.size	_ZN7rocprim17ROCPRIM_400000_NS6detail17trampoline_kernelINS0_14default_configENS1_22reduce_config_selectorI4bboxEEZNS1_11reduce_implILb1ES3_PS5_S8_S5_14bbox_reductionEE10hipError_tPvRmT1_T2_T3_mT4_P12ihipStream_tbEUlT_E0_NS1_11comp_targetILNS1_3genE10ELNS1_11target_archE1200ELNS1_3gpuE4ELNS1_3repE0EEENS1_30default_config_static_selectorELNS0_4arch9wavefront6targetE1EEEvSD_, .Lfunc_end8-_ZN7rocprim17ROCPRIM_400000_NS6detail17trampoline_kernelINS0_14default_configENS1_22reduce_config_selectorI4bboxEEZNS1_11reduce_implILb1ES3_PS5_S8_S5_14bbox_reductionEE10hipError_tPvRmT1_T2_T3_mT4_P12ihipStream_tbEUlT_E0_NS1_11comp_targetILNS1_3genE10ELNS1_11target_archE1200ELNS1_3gpuE4ELNS1_3repE0EEENS1_30default_config_static_selectorELNS0_4arch9wavefront6targetE1EEEvSD_
                                        ; -- End function
	.set _ZN7rocprim17ROCPRIM_400000_NS6detail17trampoline_kernelINS0_14default_configENS1_22reduce_config_selectorI4bboxEEZNS1_11reduce_implILb1ES3_PS5_S8_S5_14bbox_reductionEE10hipError_tPvRmT1_T2_T3_mT4_P12ihipStream_tbEUlT_E0_NS1_11comp_targetILNS1_3genE10ELNS1_11target_archE1200ELNS1_3gpuE4ELNS1_3repE0EEENS1_30default_config_static_selectorELNS0_4arch9wavefront6targetE1EEEvSD_.num_vgpr, 0
	.set _ZN7rocprim17ROCPRIM_400000_NS6detail17trampoline_kernelINS0_14default_configENS1_22reduce_config_selectorI4bboxEEZNS1_11reduce_implILb1ES3_PS5_S8_S5_14bbox_reductionEE10hipError_tPvRmT1_T2_T3_mT4_P12ihipStream_tbEUlT_E0_NS1_11comp_targetILNS1_3genE10ELNS1_11target_archE1200ELNS1_3gpuE4ELNS1_3repE0EEENS1_30default_config_static_selectorELNS0_4arch9wavefront6targetE1EEEvSD_.num_agpr, 0
	.set _ZN7rocprim17ROCPRIM_400000_NS6detail17trampoline_kernelINS0_14default_configENS1_22reduce_config_selectorI4bboxEEZNS1_11reduce_implILb1ES3_PS5_S8_S5_14bbox_reductionEE10hipError_tPvRmT1_T2_T3_mT4_P12ihipStream_tbEUlT_E0_NS1_11comp_targetILNS1_3genE10ELNS1_11target_archE1200ELNS1_3gpuE4ELNS1_3repE0EEENS1_30default_config_static_selectorELNS0_4arch9wavefront6targetE1EEEvSD_.numbered_sgpr, 0
	.set _ZN7rocprim17ROCPRIM_400000_NS6detail17trampoline_kernelINS0_14default_configENS1_22reduce_config_selectorI4bboxEEZNS1_11reduce_implILb1ES3_PS5_S8_S5_14bbox_reductionEE10hipError_tPvRmT1_T2_T3_mT4_P12ihipStream_tbEUlT_E0_NS1_11comp_targetILNS1_3genE10ELNS1_11target_archE1200ELNS1_3gpuE4ELNS1_3repE0EEENS1_30default_config_static_selectorELNS0_4arch9wavefront6targetE1EEEvSD_.num_named_barrier, 0
	.set _ZN7rocprim17ROCPRIM_400000_NS6detail17trampoline_kernelINS0_14default_configENS1_22reduce_config_selectorI4bboxEEZNS1_11reduce_implILb1ES3_PS5_S8_S5_14bbox_reductionEE10hipError_tPvRmT1_T2_T3_mT4_P12ihipStream_tbEUlT_E0_NS1_11comp_targetILNS1_3genE10ELNS1_11target_archE1200ELNS1_3gpuE4ELNS1_3repE0EEENS1_30default_config_static_selectorELNS0_4arch9wavefront6targetE1EEEvSD_.private_seg_size, 0
	.set _ZN7rocprim17ROCPRIM_400000_NS6detail17trampoline_kernelINS0_14default_configENS1_22reduce_config_selectorI4bboxEEZNS1_11reduce_implILb1ES3_PS5_S8_S5_14bbox_reductionEE10hipError_tPvRmT1_T2_T3_mT4_P12ihipStream_tbEUlT_E0_NS1_11comp_targetILNS1_3genE10ELNS1_11target_archE1200ELNS1_3gpuE4ELNS1_3repE0EEENS1_30default_config_static_selectorELNS0_4arch9wavefront6targetE1EEEvSD_.uses_vcc, 0
	.set _ZN7rocprim17ROCPRIM_400000_NS6detail17trampoline_kernelINS0_14default_configENS1_22reduce_config_selectorI4bboxEEZNS1_11reduce_implILb1ES3_PS5_S8_S5_14bbox_reductionEE10hipError_tPvRmT1_T2_T3_mT4_P12ihipStream_tbEUlT_E0_NS1_11comp_targetILNS1_3genE10ELNS1_11target_archE1200ELNS1_3gpuE4ELNS1_3repE0EEENS1_30default_config_static_selectorELNS0_4arch9wavefront6targetE1EEEvSD_.uses_flat_scratch, 0
	.set _ZN7rocprim17ROCPRIM_400000_NS6detail17trampoline_kernelINS0_14default_configENS1_22reduce_config_selectorI4bboxEEZNS1_11reduce_implILb1ES3_PS5_S8_S5_14bbox_reductionEE10hipError_tPvRmT1_T2_T3_mT4_P12ihipStream_tbEUlT_E0_NS1_11comp_targetILNS1_3genE10ELNS1_11target_archE1200ELNS1_3gpuE4ELNS1_3repE0EEENS1_30default_config_static_selectorELNS0_4arch9wavefront6targetE1EEEvSD_.has_dyn_sized_stack, 0
	.set _ZN7rocprim17ROCPRIM_400000_NS6detail17trampoline_kernelINS0_14default_configENS1_22reduce_config_selectorI4bboxEEZNS1_11reduce_implILb1ES3_PS5_S8_S5_14bbox_reductionEE10hipError_tPvRmT1_T2_T3_mT4_P12ihipStream_tbEUlT_E0_NS1_11comp_targetILNS1_3genE10ELNS1_11target_archE1200ELNS1_3gpuE4ELNS1_3repE0EEENS1_30default_config_static_selectorELNS0_4arch9wavefront6targetE1EEEvSD_.has_recursion, 0
	.set _ZN7rocprim17ROCPRIM_400000_NS6detail17trampoline_kernelINS0_14default_configENS1_22reduce_config_selectorI4bboxEEZNS1_11reduce_implILb1ES3_PS5_S8_S5_14bbox_reductionEE10hipError_tPvRmT1_T2_T3_mT4_P12ihipStream_tbEUlT_E0_NS1_11comp_targetILNS1_3genE10ELNS1_11target_archE1200ELNS1_3gpuE4ELNS1_3repE0EEENS1_30default_config_static_selectorELNS0_4arch9wavefront6targetE1EEEvSD_.has_indirect_call, 0
	.section	.AMDGPU.csdata,"",@progbits
; Kernel info:
; codeLenInByte = 0
; TotalNumSgprs: 4
; NumVgprs: 0
; ScratchSize: 0
; MemoryBound: 0
; FloatMode: 240
; IeeeMode: 1
; LDSByteSize: 0 bytes/workgroup (compile time only)
; SGPRBlocks: 0
; VGPRBlocks: 0
; NumSGPRsForWavesPerEU: 4
; NumVGPRsForWavesPerEU: 1
; Occupancy: 10
; WaveLimiterHint : 0
; COMPUTE_PGM_RSRC2:SCRATCH_EN: 0
; COMPUTE_PGM_RSRC2:USER_SGPR: 6
; COMPUTE_PGM_RSRC2:TRAP_HANDLER: 0
; COMPUTE_PGM_RSRC2:TGID_X_EN: 1
; COMPUTE_PGM_RSRC2:TGID_Y_EN: 0
; COMPUTE_PGM_RSRC2:TGID_Z_EN: 0
; COMPUTE_PGM_RSRC2:TIDIG_COMP_CNT: 0
	.section	.text._ZN7rocprim17ROCPRIM_400000_NS6detail17trampoline_kernelINS0_14default_configENS1_22reduce_config_selectorI4bboxEEZNS1_11reduce_implILb1ES3_PS5_S8_S5_14bbox_reductionEE10hipError_tPvRmT1_T2_T3_mT4_P12ihipStream_tbEUlT_E0_NS1_11comp_targetILNS1_3genE9ELNS1_11target_archE1100ELNS1_3gpuE3ELNS1_3repE0EEENS1_30default_config_static_selectorELNS0_4arch9wavefront6targetE1EEEvSD_,"axG",@progbits,_ZN7rocprim17ROCPRIM_400000_NS6detail17trampoline_kernelINS0_14default_configENS1_22reduce_config_selectorI4bboxEEZNS1_11reduce_implILb1ES3_PS5_S8_S5_14bbox_reductionEE10hipError_tPvRmT1_T2_T3_mT4_P12ihipStream_tbEUlT_E0_NS1_11comp_targetILNS1_3genE9ELNS1_11target_archE1100ELNS1_3gpuE3ELNS1_3repE0EEENS1_30default_config_static_selectorELNS0_4arch9wavefront6targetE1EEEvSD_,comdat
	.protected	_ZN7rocprim17ROCPRIM_400000_NS6detail17trampoline_kernelINS0_14default_configENS1_22reduce_config_selectorI4bboxEEZNS1_11reduce_implILb1ES3_PS5_S8_S5_14bbox_reductionEE10hipError_tPvRmT1_T2_T3_mT4_P12ihipStream_tbEUlT_E0_NS1_11comp_targetILNS1_3genE9ELNS1_11target_archE1100ELNS1_3gpuE3ELNS1_3repE0EEENS1_30default_config_static_selectorELNS0_4arch9wavefront6targetE1EEEvSD_ ; -- Begin function _ZN7rocprim17ROCPRIM_400000_NS6detail17trampoline_kernelINS0_14default_configENS1_22reduce_config_selectorI4bboxEEZNS1_11reduce_implILb1ES3_PS5_S8_S5_14bbox_reductionEE10hipError_tPvRmT1_T2_T3_mT4_P12ihipStream_tbEUlT_E0_NS1_11comp_targetILNS1_3genE9ELNS1_11target_archE1100ELNS1_3gpuE3ELNS1_3repE0EEENS1_30default_config_static_selectorELNS0_4arch9wavefront6targetE1EEEvSD_
	.globl	_ZN7rocprim17ROCPRIM_400000_NS6detail17trampoline_kernelINS0_14default_configENS1_22reduce_config_selectorI4bboxEEZNS1_11reduce_implILb1ES3_PS5_S8_S5_14bbox_reductionEE10hipError_tPvRmT1_T2_T3_mT4_P12ihipStream_tbEUlT_E0_NS1_11comp_targetILNS1_3genE9ELNS1_11target_archE1100ELNS1_3gpuE3ELNS1_3repE0EEENS1_30default_config_static_selectorELNS0_4arch9wavefront6targetE1EEEvSD_
	.p2align	8
	.type	_ZN7rocprim17ROCPRIM_400000_NS6detail17trampoline_kernelINS0_14default_configENS1_22reduce_config_selectorI4bboxEEZNS1_11reduce_implILb1ES3_PS5_S8_S5_14bbox_reductionEE10hipError_tPvRmT1_T2_T3_mT4_P12ihipStream_tbEUlT_E0_NS1_11comp_targetILNS1_3genE9ELNS1_11target_archE1100ELNS1_3gpuE3ELNS1_3repE0EEENS1_30default_config_static_selectorELNS0_4arch9wavefront6targetE1EEEvSD_,@function
_ZN7rocprim17ROCPRIM_400000_NS6detail17trampoline_kernelINS0_14default_configENS1_22reduce_config_selectorI4bboxEEZNS1_11reduce_implILb1ES3_PS5_S8_S5_14bbox_reductionEE10hipError_tPvRmT1_T2_T3_mT4_P12ihipStream_tbEUlT_E0_NS1_11comp_targetILNS1_3genE9ELNS1_11target_archE1100ELNS1_3gpuE3ELNS1_3repE0EEENS1_30default_config_static_selectorELNS0_4arch9wavefront6targetE1EEEvSD_: ; @_ZN7rocprim17ROCPRIM_400000_NS6detail17trampoline_kernelINS0_14default_configENS1_22reduce_config_selectorI4bboxEEZNS1_11reduce_implILb1ES3_PS5_S8_S5_14bbox_reductionEE10hipError_tPvRmT1_T2_T3_mT4_P12ihipStream_tbEUlT_E0_NS1_11comp_targetILNS1_3genE9ELNS1_11target_archE1100ELNS1_3gpuE3ELNS1_3repE0EEENS1_30default_config_static_selectorELNS0_4arch9wavefront6targetE1EEEvSD_
; %bb.0:
	.section	.rodata,"a",@progbits
	.p2align	6, 0x0
	.amdhsa_kernel _ZN7rocprim17ROCPRIM_400000_NS6detail17trampoline_kernelINS0_14default_configENS1_22reduce_config_selectorI4bboxEEZNS1_11reduce_implILb1ES3_PS5_S8_S5_14bbox_reductionEE10hipError_tPvRmT1_T2_T3_mT4_P12ihipStream_tbEUlT_E0_NS1_11comp_targetILNS1_3genE9ELNS1_11target_archE1100ELNS1_3gpuE3ELNS1_3repE0EEENS1_30default_config_static_selectorELNS0_4arch9wavefront6targetE1EEEvSD_
		.amdhsa_group_segment_fixed_size 0
		.amdhsa_private_segment_fixed_size 0
		.amdhsa_kernarg_size 72
		.amdhsa_user_sgpr_count 6
		.amdhsa_user_sgpr_private_segment_buffer 1
		.amdhsa_user_sgpr_dispatch_ptr 0
		.amdhsa_user_sgpr_queue_ptr 0
		.amdhsa_user_sgpr_kernarg_segment_ptr 1
		.amdhsa_user_sgpr_dispatch_id 0
		.amdhsa_user_sgpr_flat_scratch_init 0
		.amdhsa_user_sgpr_private_segment_size 0
		.amdhsa_uses_dynamic_stack 0
		.amdhsa_system_sgpr_private_segment_wavefront_offset 0
		.amdhsa_system_sgpr_workgroup_id_x 1
		.amdhsa_system_sgpr_workgroup_id_y 0
		.amdhsa_system_sgpr_workgroup_id_z 0
		.amdhsa_system_sgpr_workgroup_info 0
		.amdhsa_system_vgpr_workitem_id 0
		.amdhsa_next_free_vgpr 1
		.amdhsa_next_free_sgpr 0
		.amdhsa_reserve_vcc 0
		.amdhsa_reserve_flat_scratch 0
		.amdhsa_float_round_mode_32 0
		.amdhsa_float_round_mode_16_64 0
		.amdhsa_float_denorm_mode_32 3
		.amdhsa_float_denorm_mode_16_64 3
		.amdhsa_dx10_clamp 1
		.amdhsa_ieee_mode 1
		.amdhsa_fp16_overflow 0
		.amdhsa_exception_fp_ieee_invalid_op 0
		.amdhsa_exception_fp_denorm_src 0
		.amdhsa_exception_fp_ieee_div_zero 0
		.amdhsa_exception_fp_ieee_overflow 0
		.amdhsa_exception_fp_ieee_underflow 0
		.amdhsa_exception_fp_ieee_inexact 0
		.amdhsa_exception_int_div_zero 0
	.end_amdhsa_kernel
	.section	.text._ZN7rocprim17ROCPRIM_400000_NS6detail17trampoline_kernelINS0_14default_configENS1_22reduce_config_selectorI4bboxEEZNS1_11reduce_implILb1ES3_PS5_S8_S5_14bbox_reductionEE10hipError_tPvRmT1_T2_T3_mT4_P12ihipStream_tbEUlT_E0_NS1_11comp_targetILNS1_3genE9ELNS1_11target_archE1100ELNS1_3gpuE3ELNS1_3repE0EEENS1_30default_config_static_selectorELNS0_4arch9wavefront6targetE1EEEvSD_,"axG",@progbits,_ZN7rocprim17ROCPRIM_400000_NS6detail17trampoline_kernelINS0_14default_configENS1_22reduce_config_selectorI4bboxEEZNS1_11reduce_implILb1ES3_PS5_S8_S5_14bbox_reductionEE10hipError_tPvRmT1_T2_T3_mT4_P12ihipStream_tbEUlT_E0_NS1_11comp_targetILNS1_3genE9ELNS1_11target_archE1100ELNS1_3gpuE3ELNS1_3repE0EEENS1_30default_config_static_selectorELNS0_4arch9wavefront6targetE1EEEvSD_,comdat
.Lfunc_end9:
	.size	_ZN7rocprim17ROCPRIM_400000_NS6detail17trampoline_kernelINS0_14default_configENS1_22reduce_config_selectorI4bboxEEZNS1_11reduce_implILb1ES3_PS5_S8_S5_14bbox_reductionEE10hipError_tPvRmT1_T2_T3_mT4_P12ihipStream_tbEUlT_E0_NS1_11comp_targetILNS1_3genE9ELNS1_11target_archE1100ELNS1_3gpuE3ELNS1_3repE0EEENS1_30default_config_static_selectorELNS0_4arch9wavefront6targetE1EEEvSD_, .Lfunc_end9-_ZN7rocprim17ROCPRIM_400000_NS6detail17trampoline_kernelINS0_14default_configENS1_22reduce_config_selectorI4bboxEEZNS1_11reduce_implILb1ES3_PS5_S8_S5_14bbox_reductionEE10hipError_tPvRmT1_T2_T3_mT4_P12ihipStream_tbEUlT_E0_NS1_11comp_targetILNS1_3genE9ELNS1_11target_archE1100ELNS1_3gpuE3ELNS1_3repE0EEENS1_30default_config_static_selectorELNS0_4arch9wavefront6targetE1EEEvSD_
                                        ; -- End function
	.set _ZN7rocprim17ROCPRIM_400000_NS6detail17trampoline_kernelINS0_14default_configENS1_22reduce_config_selectorI4bboxEEZNS1_11reduce_implILb1ES3_PS5_S8_S5_14bbox_reductionEE10hipError_tPvRmT1_T2_T3_mT4_P12ihipStream_tbEUlT_E0_NS1_11comp_targetILNS1_3genE9ELNS1_11target_archE1100ELNS1_3gpuE3ELNS1_3repE0EEENS1_30default_config_static_selectorELNS0_4arch9wavefront6targetE1EEEvSD_.num_vgpr, 0
	.set _ZN7rocprim17ROCPRIM_400000_NS6detail17trampoline_kernelINS0_14default_configENS1_22reduce_config_selectorI4bboxEEZNS1_11reduce_implILb1ES3_PS5_S8_S5_14bbox_reductionEE10hipError_tPvRmT1_T2_T3_mT4_P12ihipStream_tbEUlT_E0_NS1_11comp_targetILNS1_3genE9ELNS1_11target_archE1100ELNS1_3gpuE3ELNS1_3repE0EEENS1_30default_config_static_selectorELNS0_4arch9wavefront6targetE1EEEvSD_.num_agpr, 0
	.set _ZN7rocprim17ROCPRIM_400000_NS6detail17trampoline_kernelINS0_14default_configENS1_22reduce_config_selectorI4bboxEEZNS1_11reduce_implILb1ES3_PS5_S8_S5_14bbox_reductionEE10hipError_tPvRmT1_T2_T3_mT4_P12ihipStream_tbEUlT_E0_NS1_11comp_targetILNS1_3genE9ELNS1_11target_archE1100ELNS1_3gpuE3ELNS1_3repE0EEENS1_30default_config_static_selectorELNS0_4arch9wavefront6targetE1EEEvSD_.numbered_sgpr, 0
	.set _ZN7rocprim17ROCPRIM_400000_NS6detail17trampoline_kernelINS0_14default_configENS1_22reduce_config_selectorI4bboxEEZNS1_11reduce_implILb1ES3_PS5_S8_S5_14bbox_reductionEE10hipError_tPvRmT1_T2_T3_mT4_P12ihipStream_tbEUlT_E0_NS1_11comp_targetILNS1_3genE9ELNS1_11target_archE1100ELNS1_3gpuE3ELNS1_3repE0EEENS1_30default_config_static_selectorELNS0_4arch9wavefront6targetE1EEEvSD_.num_named_barrier, 0
	.set _ZN7rocprim17ROCPRIM_400000_NS6detail17trampoline_kernelINS0_14default_configENS1_22reduce_config_selectorI4bboxEEZNS1_11reduce_implILb1ES3_PS5_S8_S5_14bbox_reductionEE10hipError_tPvRmT1_T2_T3_mT4_P12ihipStream_tbEUlT_E0_NS1_11comp_targetILNS1_3genE9ELNS1_11target_archE1100ELNS1_3gpuE3ELNS1_3repE0EEENS1_30default_config_static_selectorELNS0_4arch9wavefront6targetE1EEEvSD_.private_seg_size, 0
	.set _ZN7rocprim17ROCPRIM_400000_NS6detail17trampoline_kernelINS0_14default_configENS1_22reduce_config_selectorI4bboxEEZNS1_11reduce_implILb1ES3_PS5_S8_S5_14bbox_reductionEE10hipError_tPvRmT1_T2_T3_mT4_P12ihipStream_tbEUlT_E0_NS1_11comp_targetILNS1_3genE9ELNS1_11target_archE1100ELNS1_3gpuE3ELNS1_3repE0EEENS1_30default_config_static_selectorELNS0_4arch9wavefront6targetE1EEEvSD_.uses_vcc, 0
	.set _ZN7rocprim17ROCPRIM_400000_NS6detail17trampoline_kernelINS0_14default_configENS1_22reduce_config_selectorI4bboxEEZNS1_11reduce_implILb1ES3_PS5_S8_S5_14bbox_reductionEE10hipError_tPvRmT1_T2_T3_mT4_P12ihipStream_tbEUlT_E0_NS1_11comp_targetILNS1_3genE9ELNS1_11target_archE1100ELNS1_3gpuE3ELNS1_3repE0EEENS1_30default_config_static_selectorELNS0_4arch9wavefront6targetE1EEEvSD_.uses_flat_scratch, 0
	.set _ZN7rocprim17ROCPRIM_400000_NS6detail17trampoline_kernelINS0_14default_configENS1_22reduce_config_selectorI4bboxEEZNS1_11reduce_implILb1ES3_PS5_S8_S5_14bbox_reductionEE10hipError_tPvRmT1_T2_T3_mT4_P12ihipStream_tbEUlT_E0_NS1_11comp_targetILNS1_3genE9ELNS1_11target_archE1100ELNS1_3gpuE3ELNS1_3repE0EEENS1_30default_config_static_selectorELNS0_4arch9wavefront6targetE1EEEvSD_.has_dyn_sized_stack, 0
	.set _ZN7rocprim17ROCPRIM_400000_NS6detail17trampoline_kernelINS0_14default_configENS1_22reduce_config_selectorI4bboxEEZNS1_11reduce_implILb1ES3_PS5_S8_S5_14bbox_reductionEE10hipError_tPvRmT1_T2_T3_mT4_P12ihipStream_tbEUlT_E0_NS1_11comp_targetILNS1_3genE9ELNS1_11target_archE1100ELNS1_3gpuE3ELNS1_3repE0EEENS1_30default_config_static_selectorELNS0_4arch9wavefront6targetE1EEEvSD_.has_recursion, 0
	.set _ZN7rocprim17ROCPRIM_400000_NS6detail17trampoline_kernelINS0_14default_configENS1_22reduce_config_selectorI4bboxEEZNS1_11reduce_implILb1ES3_PS5_S8_S5_14bbox_reductionEE10hipError_tPvRmT1_T2_T3_mT4_P12ihipStream_tbEUlT_E0_NS1_11comp_targetILNS1_3genE9ELNS1_11target_archE1100ELNS1_3gpuE3ELNS1_3repE0EEENS1_30default_config_static_selectorELNS0_4arch9wavefront6targetE1EEEvSD_.has_indirect_call, 0
	.section	.AMDGPU.csdata,"",@progbits
; Kernel info:
; codeLenInByte = 0
; TotalNumSgprs: 4
; NumVgprs: 0
; ScratchSize: 0
; MemoryBound: 0
; FloatMode: 240
; IeeeMode: 1
; LDSByteSize: 0 bytes/workgroup (compile time only)
; SGPRBlocks: 0
; VGPRBlocks: 0
; NumSGPRsForWavesPerEU: 4
; NumVGPRsForWavesPerEU: 1
; Occupancy: 10
; WaveLimiterHint : 0
; COMPUTE_PGM_RSRC2:SCRATCH_EN: 0
; COMPUTE_PGM_RSRC2:USER_SGPR: 6
; COMPUTE_PGM_RSRC2:TRAP_HANDLER: 0
; COMPUTE_PGM_RSRC2:TGID_X_EN: 1
; COMPUTE_PGM_RSRC2:TGID_Y_EN: 0
; COMPUTE_PGM_RSRC2:TGID_Z_EN: 0
; COMPUTE_PGM_RSRC2:TIDIG_COMP_CNT: 0
	.section	.text._ZN7rocprim17ROCPRIM_400000_NS6detail17trampoline_kernelINS0_14default_configENS1_22reduce_config_selectorI4bboxEEZNS1_11reduce_implILb1ES3_PS5_S8_S5_14bbox_reductionEE10hipError_tPvRmT1_T2_T3_mT4_P12ihipStream_tbEUlT_E0_NS1_11comp_targetILNS1_3genE8ELNS1_11target_archE1030ELNS1_3gpuE2ELNS1_3repE0EEENS1_30default_config_static_selectorELNS0_4arch9wavefront6targetE1EEEvSD_,"axG",@progbits,_ZN7rocprim17ROCPRIM_400000_NS6detail17trampoline_kernelINS0_14default_configENS1_22reduce_config_selectorI4bboxEEZNS1_11reduce_implILb1ES3_PS5_S8_S5_14bbox_reductionEE10hipError_tPvRmT1_T2_T3_mT4_P12ihipStream_tbEUlT_E0_NS1_11comp_targetILNS1_3genE8ELNS1_11target_archE1030ELNS1_3gpuE2ELNS1_3repE0EEENS1_30default_config_static_selectorELNS0_4arch9wavefront6targetE1EEEvSD_,comdat
	.protected	_ZN7rocprim17ROCPRIM_400000_NS6detail17trampoline_kernelINS0_14default_configENS1_22reduce_config_selectorI4bboxEEZNS1_11reduce_implILb1ES3_PS5_S8_S5_14bbox_reductionEE10hipError_tPvRmT1_T2_T3_mT4_P12ihipStream_tbEUlT_E0_NS1_11comp_targetILNS1_3genE8ELNS1_11target_archE1030ELNS1_3gpuE2ELNS1_3repE0EEENS1_30default_config_static_selectorELNS0_4arch9wavefront6targetE1EEEvSD_ ; -- Begin function _ZN7rocprim17ROCPRIM_400000_NS6detail17trampoline_kernelINS0_14default_configENS1_22reduce_config_selectorI4bboxEEZNS1_11reduce_implILb1ES3_PS5_S8_S5_14bbox_reductionEE10hipError_tPvRmT1_T2_T3_mT4_P12ihipStream_tbEUlT_E0_NS1_11comp_targetILNS1_3genE8ELNS1_11target_archE1030ELNS1_3gpuE2ELNS1_3repE0EEENS1_30default_config_static_selectorELNS0_4arch9wavefront6targetE1EEEvSD_
	.globl	_ZN7rocprim17ROCPRIM_400000_NS6detail17trampoline_kernelINS0_14default_configENS1_22reduce_config_selectorI4bboxEEZNS1_11reduce_implILb1ES3_PS5_S8_S5_14bbox_reductionEE10hipError_tPvRmT1_T2_T3_mT4_P12ihipStream_tbEUlT_E0_NS1_11comp_targetILNS1_3genE8ELNS1_11target_archE1030ELNS1_3gpuE2ELNS1_3repE0EEENS1_30default_config_static_selectorELNS0_4arch9wavefront6targetE1EEEvSD_
	.p2align	8
	.type	_ZN7rocprim17ROCPRIM_400000_NS6detail17trampoline_kernelINS0_14default_configENS1_22reduce_config_selectorI4bboxEEZNS1_11reduce_implILb1ES3_PS5_S8_S5_14bbox_reductionEE10hipError_tPvRmT1_T2_T3_mT4_P12ihipStream_tbEUlT_E0_NS1_11comp_targetILNS1_3genE8ELNS1_11target_archE1030ELNS1_3gpuE2ELNS1_3repE0EEENS1_30default_config_static_selectorELNS0_4arch9wavefront6targetE1EEEvSD_,@function
_ZN7rocprim17ROCPRIM_400000_NS6detail17trampoline_kernelINS0_14default_configENS1_22reduce_config_selectorI4bboxEEZNS1_11reduce_implILb1ES3_PS5_S8_S5_14bbox_reductionEE10hipError_tPvRmT1_T2_T3_mT4_P12ihipStream_tbEUlT_E0_NS1_11comp_targetILNS1_3genE8ELNS1_11target_archE1030ELNS1_3gpuE2ELNS1_3repE0EEENS1_30default_config_static_selectorELNS0_4arch9wavefront6targetE1EEEvSD_: ; @_ZN7rocprim17ROCPRIM_400000_NS6detail17trampoline_kernelINS0_14default_configENS1_22reduce_config_selectorI4bboxEEZNS1_11reduce_implILb1ES3_PS5_S8_S5_14bbox_reductionEE10hipError_tPvRmT1_T2_T3_mT4_P12ihipStream_tbEUlT_E0_NS1_11comp_targetILNS1_3genE8ELNS1_11target_archE1030ELNS1_3gpuE2ELNS1_3repE0EEENS1_30default_config_static_selectorELNS0_4arch9wavefront6targetE1EEEvSD_
; %bb.0:
	.section	.rodata,"a",@progbits
	.p2align	6, 0x0
	.amdhsa_kernel _ZN7rocprim17ROCPRIM_400000_NS6detail17trampoline_kernelINS0_14default_configENS1_22reduce_config_selectorI4bboxEEZNS1_11reduce_implILb1ES3_PS5_S8_S5_14bbox_reductionEE10hipError_tPvRmT1_T2_T3_mT4_P12ihipStream_tbEUlT_E0_NS1_11comp_targetILNS1_3genE8ELNS1_11target_archE1030ELNS1_3gpuE2ELNS1_3repE0EEENS1_30default_config_static_selectorELNS0_4arch9wavefront6targetE1EEEvSD_
		.amdhsa_group_segment_fixed_size 0
		.amdhsa_private_segment_fixed_size 0
		.amdhsa_kernarg_size 72
		.amdhsa_user_sgpr_count 6
		.amdhsa_user_sgpr_private_segment_buffer 1
		.amdhsa_user_sgpr_dispatch_ptr 0
		.amdhsa_user_sgpr_queue_ptr 0
		.amdhsa_user_sgpr_kernarg_segment_ptr 1
		.amdhsa_user_sgpr_dispatch_id 0
		.amdhsa_user_sgpr_flat_scratch_init 0
		.amdhsa_user_sgpr_private_segment_size 0
		.amdhsa_uses_dynamic_stack 0
		.amdhsa_system_sgpr_private_segment_wavefront_offset 0
		.amdhsa_system_sgpr_workgroup_id_x 1
		.amdhsa_system_sgpr_workgroup_id_y 0
		.amdhsa_system_sgpr_workgroup_id_z 0
		.amdhsa_system_sgpr_workgroup_info 0
		.amdhsa_system_vgpr_workitem_id 0
		.amdhsa_next_free_vgpr 1
		.amdhsa_next_free_sgpr 0
		.amdhsa_reserve_vcc 0
		.amdhsa_reserve_flat_scratch 0
		.amdhsa_float_round_mode_32 0
		.amdhsa_float_round_mode_16_64 0
		.amdhsa_float_denorm_mode_32 3
		.amdhsa_float_denorm_mode_16_64 3
		.amdhsa_dx10_clamp 1
		.amdhsa_ieee_mode 1
		.amdhsa_fp16_overflow 0
		.amdhsa_exception_fp_ieee_invalid_op 0
		.amdhsa_exception_fp_denorm_src 0
		.amdhsa_exception_fp_ieee_div_zero 0
		.amdhsa_exception_fp_ieee_overflow 0
		.amdhsa_exception_fp_ieee_underflow 0
		.amdhsa_exception_fp_ieee_inexact 0
		.amdhsa_exception_int_div_zero 0
	.end_amdhsa_kernel
	.section	.text._ZN7rocprim17ROCPRIM_400000_NS6detail17trampoline_kernelINS0_14default_configENS1_22reduce_config_selectorI4bboxEEZNS1_11reduce_implILb1ES3_PS5_S8_S5_14bbox_reductionEE10hipError_tPvRmT1_T2_T3_mT4_P12ihipStream_tbEUlT_E0_NS1_11comp_targetILNS1_3genE8ELNS1_11target_archE1030ELNS1_3gpuE2ELNS1_3repE0EEENS1_30default_config_static_selectorELNS0_4arch9wavefront6targetE1EEEvSD_,"axG",@progbits,_ZN7rocprim17ROCPRIM_400000_NS6detail17trampoline_kernelINS0_14default_configENS1_22reduce_config_selectorI4bboxEEZNS1_11reduce_implILb1ES3_PS5_S8_S5_14bbox_reductionEE10hipError_tPvRmT1_T2_T3_mT4_P12ihipStream_tbEUlT_E0_NS1_11comp_targetILNS1_3genE8ELNS1_11target_archE1030ELNS1_3gpuE2ELNS1_3repE0EEENS1_30default_config_static_selectorELNS0_4arch9wavefront6targetE1EEEvSD_,comdat
.Lfunc_end10:
	.size	_ZN7rocprim17ROCPRIM_400000_NS6detail17trampoline_kernelINS0_14default_configENS1_22reduce_config_selectorI4bboxEEZNS1_11reduce_implILb1ES3_PS5_S8_S5_14bbox_reductionEE10hipError_tPvRmT1_T2_T3_mT4_P12ihipStream_tbEUlT_E0_NS1_11comp_targetILNS1_3genE8ELNS1_11target_archE1030ELNS1_3gpuE2ELNS1_3repE0EEENS1_30default_config_static_selectorELNS0_4arch9wavefront6targetE1EEEvSD_, .Lfunc_end10-_ZN7rocprim17ROCPRIM_400000_NS6detail17trampoline_kernelINS0_14default_configENS1_22reduce_config_selectorI4bboxEEZNS1_11reduce_implILb1ES3_PS5_S8_S5_14bbox_reductionEE10hipError_tPvRmT1_T2_T3_mT4_P12ihipStream_tbEUlT_E0_NS1_11comp_targetILNS1_3genE8ELNS1_11target_archE1030ELNS1_3gpuE2ELNS1_3repE0EEENS1_30default_config_static_selectorELNS0_4arch9wavefront6targetE1EEEvSD_
                                        ; -- End function
	.set _ZN7rocprim17ROCPRIM_400000_NS6detail17trampoline_kernelINS0_14default_configENS1_22reduce_config_selectorI4bboxEEZNS1_11reduce_implILb1ES3_PS5_S8_S5_14bbox_reductionEE10hipError_tPvRmT1_T2_T3_mT4_P12ihipStream_tbEUlT_E0_NS1_11comp_targetILNS1_3genE8ELNS1_11target_archE1030ELNS1_3gpuE2ELNS1_3repE0EEENS1_30default_config_static_selectorELNS0_4arch9wavefront6targetE1EEEvSD_.num_vgpr, 0
	.set _ZN7rocprim17ROCPRIM_400000_NS6detail17trampoline_kernelINS0_14default_configENS1_22reduce_config_selectorI4bboxEEZNS1_11reduce_implILb1ES3_PS5_S8_S5_14bbox_reductionEE10hipError_tPvRmT1_T2_T3_mT4_P12ihipStream_tbEUlT_E0_NS1_11comp_targetILNS1_3genE8ELNS1_11target_archE1030ELNS1_3gpuE2ELNS1_3repE0EEENS1_30default_config_static_selectorELNS0_4arch9wavefront6targetE1EEEvSD_.num_agpr, 0
	.set _ZN7rocprim17ROCPRIM_400000_NS6detail17trampoline_kernelINS0_14default_configENS1_22reduce_config_selectorI4bboxEEZNS1_11reduce_implILb1ES3_PS5_S8_S5_14bbox_reductionEE10hipError_tPvRmT1_T2_T3_mT4_P12ihipStream_tbEUlT_E0_NS1_11comp_targetILNS1_3genE8ELNS1_11target_archE1030ELNS1_3gpuE2ELNS1_3repE0EEENS1_30default_config_static_selectorELNS0_4arch9wavefront6targetE1EEEvSD_.numbered_sgpr, 0
	.set _ZN7rocprim17ROCPRIM_400000_NS6detail17trampoline_kernelINS0_14default_configENS1_22reduce_config_selectorI4bboxEEZNS1_11reduce_implILb1ES3_PS5_S8_S5_14bbox_reductionEE10hipError_tPvRmT1_T2_T3_mT4_P12ihipStream_tbEUlT_E0_NS1_11comp_targetILNS1_3genE8ELNS1_11target_archE1030ELNS1_3gpuE2ELNS1_3repE0EEENS1_30default_config_static_selectorELNS0_4arch9wavefront6targetE1EEEvSD_.num_named_barrier, 0
	.set _ZN7rocprim17ROCPRIM_400000_NS6detail17trampoline_kernelINS0_14default_configENS1_22reduce_config_selectorI4bboxEEZNS1_11reduce_implILb1ES3_PS5_S8_S5_14bbox_reductionEE10hipError_tPvRmT1_T2_T3_mT4_P12ihipStream_tbEUlT_E0_NS1_11comp_targetILNS1_3genE8ELNS1_11target_archE1030ELNS1_3gpuE2ELNS1_3repE0EEENS1_30default_config_static_selectorELNS0_4arch9wavefront6targetE1EEEvSD_.private_seg_size, 0
	.set _ZN7rocprim17ROCPRIM_400000_NS6detail17trampoline_kernelINS0_14default_configENS1_22reduce_config_selectorI4bboxEEZNS1_11reduce_implILb1ES3_PS5_S8_S5_14bbox_reductionEE10hipError_tPvRmT1_T2_T3_mT4_P12ihipStream_tbEUlT_E0_NS1_11comp_targetILNS1_3genE8ELNS1_11target_archE1030ELNS1_3gpuE2ELNS1_3repE0EEENS1_30default_config_static_selectorELNS0_4arch9wavefront6targetE1EEEvSD_.uses_vcc, 0
	.set _ZN7rocprim17ROCPRIM_400000_NS6detail17trampoline_kernelINS0_14default_configENS1_22reduce_config_selectorI4bboxEEZNS1_11reduce_implILb1ES3_PS5_S8_S5_14bbox_reductionEE10hipError_tPvRmT1_T2_T3_mT4_P12ihipStream_tbEUlT_E0_NS1_11comp_targetILNS1_3genE8ELNS1_11target_archE1030ELNS1_3gpuE2ELNS1_3repE0EEENS1_30default_config_static_selectorELNS0_4arch9wavefront6targetE1EEEvSD_.uses_flat_scratch, 0
	.set _ZN7rocprim17ROCPRIM_400000_NS6detail17trampoline_kernelINS0_14default_configENS1_22reduce_config_selectorI4bboxEEZNS1_11reduce_implILb1ES3_PS5_S8_S5_14bbox_reductionEE10hipError_tPvRmT1_T2_T3_mT4_P12ihipStream_tbEUlT_E0_NS1_11comp_targetILNS1_3genE8ELNS1_11target_archE1030ELNS1_3gpuE2ELNS1_3repE0EEENS1_30default_config_static_selectorELNS0_4arch9wavefront6targetE1EEEvSD_.has_dyn_sized_stack, 0
	.set _ZN7rocprim17ROCPRIM_400000_NS6detail17trampoline_kernelINS0_14default_configENS1_22reduce_config_selectorI4bboxEEZNS1_11reduce_implILb1ES3_PS5_S8_S5_14bbox_reductionEE10hipError_tPvRmT1_T2_T3_mT4_P12ihipStream_tbEUlT_E0_NS1_11comp_targetILNS1_3genE8ELNS1_11target_archE1030ELNS1_3gpuE2ELNS1_3repE0EEENS1_30default_config_static_selectorELNS0_4arch9wavefront6targetE1EEEvSD_.has_recursion, 0
	.set _ZN7rocprim17ROCPRIM_400000_NS6detail17trampoline_kernelINS0_14default_configENS1_22reduce_config_selectorI4bboxEEZNS1_11reduce_implILb1ES3_PS5_S8_S5_14bbox_reductionEE10hipError_tPvRmT1_T2_T3_mT4_P12ihipStream_tbEUlT_E0_NS1_11comp_targetILNS1_3genE8ELNS1_11target_archE1030ELNS1_3gpuE2ELNS1_3repE0EEENS1_30default_config_static_selectorELNS0_4arch9wavefront6targetE1EEEvSD_.has_indirect_call, 0
	.section	.AMDGPU.csdata,"",@progbits
; Kernel info:
; codeLenInByte = 0
; TotalNumSgprs: 4
; NumVgprs: 0
; ScratchSize: 0
; MemoryBound: 0
; FloatMode: 240
; IeeeMode: 1
; LDSByteSize: 0 bytes/workgroup (compile time only)
; SGPRBlocks: 0
; VGPRBlocks: 0
; NumSGPRsForWavesPerEU: 4
; NumVGPRsForWavesPerEU: 1
; Occupancy: 10
; WaveLimiterHint : 0
; COMPUTE_PGM_RSRC2:SCRATCH_EN: 0
; COMPUTE_PGM_RSRC2:USER_SGPR: 6
; COMPUTE_PGM_RSRC2:TRAP_HANDLER: 0
; COMPUTE_PGM_RSRC2:TGID_X_EN: 1
; COMPUTE_PGM_RSRC2:TGID_Y_EN: 0
; COMPUTE_PGM_RSRC2:TGID_Z_EN: 0
; COMPUTE_PGM_RSRC2:TIDIG_COMP_CNT: 0
	.section	.text._ZN7rocprim17ROCPRIM_400000_NS6detail17trampoline_kernelINS0_14default_configENS1_22reduce_config_selectorI4bboxEEZNS1_11reduce_implILb1ES3_PS5_S8_S5_14bbox_reductionEE10hipError_tPvRmT1_T2_T3_mT4_P12ihipStream_tbEUlT_E1_NS1_11comp_targetILNS1_3genE0ELNS1_11target_archE4294967295ELNS1_3gpuE0ELNS1_3repE0EEENS1_30default_config_static_selectorELNS0_4arch9wavefront6targetE1EEEvSD_,"axG",@progbits,_ZN7rocprim17ROCPRIM_400000_NS6detail17trampoline_kernelINS0_14default_configENS1_22reduce_config_selectorI4bboxEEZNS1_11reduce_implILb1ES3_PS5_S8_S5_14bbox_reductionEE10hipError_tPvRmT1_T2_T3_mT4_P12ihipStream_tbEUlT_E1_NS1_11comp_targetILNS1_3genE0ELNS1_11target_archE4294967295ELNS1_3gpuE0ELNS1_3repE0EEENS1_30default_config_static_selectorELNS0_4arch9wavefront6targetE1EEEvSD_,comdat
	.protected	_ZN7rocprim17ROCPRIM_400000_NS6detail17trampoline_kernelINS0_14default_configENS1_22reduce_config_selectorI4bboxEEZNS1_11reduce_implILb1ES3_PS5_S8_S5_14bbox_reductionEE10hipError_tPvRmT1_T2_T3_mT4_P12ihipStream_tbEUlT_E1_NS1_11comp_targetILNS1_3genE0ELNS1_11target_archE4294967295ELNS1_3gpuE0ELNS1_3repE0EEENS1_30default_config_static_selectorELNS0_4arch9wavefront6targetE1EEEvSD_ ; -- Begin function _ZN7rocprim17ROCPRIM_400000_NS6detail17trampoline_kernelINS0_14default_configENS1_22reduce_config_selectorI4bboxEEZNS1_11reduce_implILb1ES3_PS5_S8_S5_14bbox_reductionEE10hipError_tPvRmT1_T2_T3_mT4_P12ihipStream_tbEUlT_E1_NS1_11comp_targetILNS1_3genE0ELNS1_11target_archE4294967295ELNS1_3gpuE0ELNS1_3repE0EEENS1_30default_config_static_selectorELNS0_4arch9wavefront6targetE1EEEvSD_
	.globl	_ZN7rocprim17ROCPRIM_400000_NS6detail17trampoline_kernelINS0_14default_configENS1_22reduce_config_selectorI4bboxEEZNS1_11reduce_implILb1ES3_PS5_S8_S5_14bbox_reductionEE10hipError_tPvRmT1_T2_T3_mT4_P12ihipStream_tbEUlT_E1_NS1_11comp_targetILNS1_3genE0ELNS1_11target_archE4294967295ELNS1_3gpuE0ELNS1_3repE0EEENS1_30default_config_static_selectorELNS0_4arch9wavefront6targetE1EEEvSD_
	.p2align	8
	.type	_ZN7rocprim17ROCPRIM_400000_NS6detail17trampoline_kernelINS0_14default_configENS1_22reduce_config_selectorI4bboxEEZNS1_11reduce_implILb1ES3_PS5_S8_S5_14bbox_reductionEE10hipError_tPvRmT1_T2_T3_mT4_P12ihipStream_tbEUlT_E1_NS1_11comp_targetILNS1_3genE0ELNS1_11target_archE4294967295ELNS1_3gpuE0ELNS1_3repE0EEENS1_30default_config_static_selectorELNS0_4arch9wavefront6targetE1EEEvSD_,@function
_ZN7rocprim17ROCPRIM_400000_NS6detail17trampoline_kernelINS0_14default_configENS1_22reduce_config_selectorI4bboxEEZNS1_11reduce_implILb1ES3_PS5_S8_S5_14bbox_reductionEE10hipError_tPvRmT1_T2_T3_mT4_P12ihipStream_tbEUlT_E1_NS1_11comp_targetILNS1_3genE0ELNS1_11target_archE4294967295ELNS1_3gpuE0ELNS1_3repE0EEENS1_30default_config_static_selectorELNS0_4arch9wavefront6targetE1EEEvSD_: ; @_ZN7rocprim17ROCPRIM_400000_NS6detail17trampoline_kernelINS0_14default_configENS1_22reduce_config_selectorI4bboxEEZNS1_11reduce_implILb1ES3_PS5_S8_S5_14bbox_reductionEE10hipError_tPvRmT1_T2_T3_mT4_P12ihipStream_tbEUlT_E1_NS1_11comp_targetILNS1_3genE0ELNS1_11target_archE4294967295ELNS1_3gpuE0ELNS1_3repE0EEENS1_30default_config_static_selectorELNS0_4arch9wavefront6targetE1EEEvSD_
; %bb.0:
	.section	.rodata,"a",@progbits
	.p2align	6, 0x0
	.amdhsa_kernel _ZN7rocprim17ROCPRIM_400000_NS6detail17trampoline_kernelINS0_14default_configENS1_22reduce_config_selectorI4bboxEEZNS1_11reduce_implILb1ES3_PS5_S8_S5_14bbox_reductionEE10hipError_tPvRmT1_T2_T3_mT4_P12ihipStream_tbEUlT_E1_NS1_11comp_targetILNS1_3genE0ELNS1_11target_archE4294967295ELNS1_3gpuE0ELNS1_3repE0EEENS1_30default_config_static_selectorELNS0_4arch9wavefront6targetE1EEEvSD_
		.amdhsa_group_segment_fixed_size 0
		.amdhsa_private_segment_fixed_size 0
		.amdhsa_kernarg_size 56
		.amdhsa_user_sgpr_count 6
		.amdhsa_user_sgpr_private_segment_buffer 1
		.amdhsa_user_sgpr_dispatch_ptr 0
		.amdhsa_user_sgpr_queue_ptr 0
		.amdhsa_user_sgpr_kernarg_segment_ptr 1
		.amdhsa_user_sgpr_dispatch_id 0
		.amdhsa_user_sgpr_flat_scratch_init 0
		.amdhsa_user_sgpr_private_segment_size 0
		.amdhsa_uses_dynamic_stack 0
		.amdhsa_system_sgpr_private_segment_wavefront_offset 0
		.amdhsa_system_sgpr_workgroup_id_x 1
		.amdhsa_system_sgpr_workgroup_id_y 0
		.amdhsa_system_sgpr_workgroup_id_z 0
		.amdhsa_system_sgpr_workgroup_info 0
		.amdhsa_system_vgpr_workitem_id 0
		.amdhsa_next_free_vgpr 1
		.amdhsa_next_free_sgpr 0
		.amdhsa_reserve_vcc 0
		.amdhsa_reserve_flat_scratch 0
		.amdhsa_float_round_mode_32 0
		.amdhsa_float_round_mode_16_64 0
		.amdhsa_float_denorm_mode_32 3
		.amdhsa_float_denorm_mode_16_64 3
		.amdhsa_dx10_clamp 1
		.amdhsa_ieee_mode 1
		.amdhsa_fp16_overflow 0
		.amdhsa_exception_fp_ieee_invalid_op 0
		.amdhsa_exception_fp_denorm_src 0
		.amdhsa_exception_fp_ieee_div_zero 0
		.amdhsa_exception_fp_ieee_overflow 0
		.amdhsa_exception_fp_ieee_underflow 0
		.amdhsa_exception_fp_ieee_inexact 0
		.amdhsa_exception_int_div_zero 0
	.end_amdhsa_kernel
	.section	.text._ZN7rocprim17ROCPRIM_400000_NS6detail17trampoline_kernelINS0_14default_configENS1_22reduce_config_selectorI4bboxEEZNS1_11reduce_implILb1ES3_PS5_S8_S5_14bbox_reductionEE10hipError_tPvRmT1_T2_T3_mT4_P12ihipStream_tbEUlT_E1_NS1_11comp_targetILNS1_3genE0ELNS1_11target_archE4294967295ELNS1_3gpuE0ELNS1_3repE0EEENS1_30default_config_static_selectorELNS0_4arch9wavefront6targetE1EEEvSD_,"axG",@progbits,_ZN7rocprim17ROCPRIM_400000_NS6detail17trampoline_kernelINS0_14default_configENS1_22reduce_config_selectorI4bboxEEZNS1_11reduce_implILb1ES3_PS5_S8_S5_14bbox_reductionEE10hipError_tPvRmT1_T2_T3_mT4_P12ihipStream_tbEUlT_E1_NS1_11comp_targetILNS1_3genE0ELNS1_11target_archE4294967295ELNS1_3gpuE0ELNS1_3repE0EEENS1_30default_config_static_selectorELNS0_4arch9wavefront6targetE1EEEvSD_,comdat
.Lfunc_end11:
	.size	_ZN7rocprim17ROCPRIM_400000_NS6detail17trampoline_kernelINS0_14default_configENS1_22reduce_config_selectorI4bboxEEZNS1_11reduce_implILb1ES3_PS5_S8_S5_14bbox_reductionEE10hipError_tPvRmT1_T2_T3_mT4_P12ihipStream_tbEUlT_E1_NS1_11comp_targetILNS1_3genE0ELNS1_11target_archE4294967295ELNS1_3gpuE0ELNS1_3repE0EEENS1_30default_config_static_selectorELNS0_4arch9wavefront6targetE1EEEvSD_, .Lfunc_end11-_ZN7rocprim17ROCPRIM_400000_NS6detail17trampoline_kernelINS0_14default_configENS1_22reduce_config_selectorI4bboxEEZNS1_11reduce_implILb1ES3_PS5_S8_S5_14bbox_reductionEE10hipError_tPvRmT1_T2_T3_mT4_P12ihipStream_tbEUlT_E1_NS1_11comp_targetILNS1_3genE0ELNS1_11target_archE4294967295ELNS1_3gpuE0ELNS1_3repE0EEENS1_30default_config_static_selectorELNS0_4arch9wavefront6targetE1EEEvSD_
                                        ; -- End function
	.set _ZN7rocprim17ROCPRIM_400000_NS6detail17trampoline_kernelINS0_14default_configENS1_22reduce_config_selectorI4bboxEEZNS1_11reduce_implILb1ES3_PS5_S8_S5_14bbox_reductionEE10hipError_tPvRmT1_T2_T3_mT4_P12ihipStream_tbEUlT_E1_NS1_11comp_targetILNS1_3genE0ELNS1_11target_archE4294967295ELNS1_3gpuE0ELNS1_3repE0EEENS1_30default_config_static_selectorELNS0_4arch9wavefront6targetE1EEEvSD_.num_vgpr, 0
	.set _ZN7rocprim17ROCPRIM_400000_NS6detail17trampoline_kernelINS0_14default_configENS1_22reduce_config_selectorI4bboxEEZNS1_11reduce_implILb1ES3_PS5_S8_S5_14bbox_reductionEE10hipError_tPvRmT1_T2_T3_mT4_P12ihipStream_tbEUlT_E1_NS1_11comp_targetILNS1_3genE0ELNS1_11target_archE4294967295ELNS1_3gpuE0ELNS1_3repE0EEENS1_30default_config_static_selectorELNS0_4arch9wavefront6targetE1EEEvSD_.num_agpr, 0
	.set _ZN7rocprim17ROCPRIM_400000_NS6detail17trampoline_kernelINS0_14default_configENS1_22reduce_config_selectorI4bboxEEZNS1_11reduce_implILb1ES3_PS5_S8_S5_14bbox_reductionEE10hipError_tPvRmT1_T2_T3_mT4_P12ihipStream_tbEUlT_E1_NS1_11comp_targetILNS1_3genE0ELNS1_11target_archE4294967295ELNS1_3gpuE0ELNS1_3repE0EEENS1_30default_config_static_selectorELNS0_4arch9wavefront6targetE1EEEvSD_.numbered_sgpr, 0
	.set _ZN7rocprim17ROCPRIM_400000_NS6detail17trampoline_kernelINS0_14default_configENS1_22reduce_config_selectorI4bboxEEZNS1_11reduce_implILb1ES3_PS5_S8_S5_14bbox_reductionEE10hipError_tPvRmT1_T2_T3_mT4_P12ihipStream_tbEUlT_E1_NS1_11comp_targetILNS1_3genE0ELNS1_11target_archE4294967295ELNS1_3gpuE0ELNS1_3repE0EEENS1_30default_config_static_selectorELNS0_4arch9wavefront6targetE1EEEvSD_.num_named_barrier, 0
	.set _ZN7rocprim17ROCPRIM_400000_NS6detail17trampoline_kernelINS0_14default_configENS1_22reduce_config_selectorI4bboxEEZNS1_11reduce_implILb1ES3_PS5_S8_S5_14bbox_reductionEE10hipError_tPvRmT1_T2_T3_mT4_P12ihipStream_tbEUlT_E1_NS1_11comp_targetILNS1_3genE0ELNS1_11target_archE4294967295ELNS1_3gpuE0ELNS1_3repE0EEENS1_30default_config_static_selectorELNS0_4arch9wavefront6targetE1EEEvSD_.private_seg_size, 0
	.set _ZN7rocprim17ROCPRIM_400000_NS6detail17trampoline_kernelINS0_14default_configENS1_22reduce_config_selectorI4bboxEEZNS1_11reduce_implILb1ES3_PS5_S8_S5_14bbox_reductionEE10hipError_tPvRmT1_T2_T3_mT4_P12ihipStream_tbEUlT_E1_NS1_11comp_targetILNS1_3genE0ELNS1_11target_archE4294967295ELNS1_3gpuE0ELNS1_3repE0EEENS1_30default_config_static_selectorELNS0_4arch9wavefront6targetE1EEEvSD_.uses_vcc, 0
	.set _ZN7rocprim17ROCPRIM_400000_NS6detail17trampoline_kernelINS0_14default_configENS1_22reduce_config_selectorI4bboxEEZNS1_11reduce_implILb1ES3_PS5_S8_S5_14bbox_reductionEE10hipError_tPvRmT1_T2_T3_mT4_P12ihipStream_tbEUlT_E1_NS1_11comp_targetILNS1_3genE0ELNS1_11target_archE4294967295ELNS1_3gpuE0ELNS1_3repE0EEENS1_30default_config_static_selectorELNS0_4arch9wavefront6targetE1EEEvSD_.uses_flat_scratch, 0
	.set _ZN7rocprim17ROCPRIM_400000_NS6detail17trampoline_kernelINS0_14default_configENS1_22reduce_config_selectorI4bboxEEZNS1_11reduce_implILb1ES3_PS5_S8_S5_14bbox_reductionEE10hipError_tPvRmT1_T2_T3_mT4_P12ihipStream_tbEUlT_E1_NS1_11comp_targetILNS1_3genE0ELNS1_11target_archE4294967295ELNS1_3gpuE0ELNS1_3repE0EEENS1_30default_config_static_selectorELNS0_4arch9wavefront6targetE1EEEvSD_.has_dyn_sized_stack, 0
	.set _ZN7rocprim17ROCPRIM_400000_NS6detail17trampoline_kernelINS0_14default_configENS1_22reduce_config_selectorI4bboxEEZNS1_11reduce_implILb1ES3_PS5_S8_S5_14bbox_reductionEE10hipError_tPvRmT1_T2_T3_mT4_P12ihipStream_tbEUlT_E1_NS1_11comp_targetILNS1_3genE0ELNS1_11target_archE4294967295ELNS1_3gpuE0ELNS1_3repE0EEENS1_30default_config_static_selectorELNS0_4arch9wavefront6targetE1EEEvSD_.has_recursion, 0
	.set _ZN7rocprim17ROCPRIM_400000_NS6detail17trampoline_kernelINS0_14default_configENS1_22reduce_config_selectorI4bboxEEZNS1_11reduce_implILb1ES3_PS5_S8_S5_14bbox_reductionEE10hipError_tPvRmT1_T2_T3_mT4_P12ihipStream_tbEUlT_E1_NS1_11comp_targetILNS1_3genE0ELNS1_11target_archE4294967295ELNS1_3gpuE0ELNS1_3repE0EEENS1_30default_config_static_selectorELNS0_4arch9wavefront6targetE1EEEvSD_.has_indirect_call, 0
	.section	.AMDGPU.csdata,"",@progbits
; Kernel info:
; codeLenInByte = 0
; TotalNumSgprs: 4
; NumVgprs: 0
; ScratchSize: 0
; MemoryBound: 0
; FloatMode: 240
; IeeeMode: 1
; LDSByteSize: 0 bytes/workgroup (compile time only)
; SGPRBlocks: 0
; VGPRBlocks: 0
; NumSGPRsForWavesPerEU: 4
; NumVGPRsForWavesPerEU: 1
; Occupancy: 10
; WaveLimiterHint : 0
; COMPUTE_PGM_RSRC2:SCRATCH_EN: 0
; COMPUTE_PGM_RSRC2:USER_SGPR: 6
; COMPUTE_PGM_RSRC2:TRAP_HANDLER: 0
; COMPUTE_PGM_RSRC2:TGID_X_EN: 1
; COMPUTE_PGM_RSRC2:TGID_Y_EN: 0
; COMPUTE_PGM_RSRC2:TGID_Z_EN: 0
; COMPUTE_PGM_RSRC2:TIDIG_COMP_CNT: 0
	.section	.text._ZN7rocprim17ROCPRIM_400000_NS6detail17trampoline_kernelINS0_14default_configENS1_22reduce_config_selectorI4bboxEEZNS1_11reduce_implILb1ES3_PS5_S8_S5_14bbox_reductionEE10hipError_tPvRmT1_T2_T3_mT4_P12ihipStream_tbEUlT_E1_NS1_11comp_targetILNS1_3genE5ELNS1_11target_archE942ELNS1_3gpuE9ELNS1_3repE0EEENS1_30default_config_static_selectorELNS0_4arch9wavefront6targetE1EEEvSD_,"axG",@progbits,_ZN7rocprim17ROCPRIM_400000_NS6detail17trampoline_kernelINS0_14default_configENS1_22reduce_config_selectorI4bboxEEZNS1_11reduce_implILb1ES3_PS5_S8_S5_14bbox_reductionEE10hipError_tPvRmT1_T2_T3_mT4_P12ihipStream_tbEUlT_E1_NS1_11comp_targetILNS1_3genE5ELNS1_11target_archE942ELNS1_3gpuE9ELNS1_3repE0EEENS1_30default_config_static_selectorELNS0_4arch9wavefront6targetE1EEEvSD_,comdat
	.protected	_ZN7rocprim17ROCPRIM_400000_NS6detail17trampoline_kernelINS0_14default_configENS1_22reduce_config_selectorI4bboxEEZNS1_11reduce_implILb1ES3_PS5_S8_S5_14bbox_reductionEE10hipError_tPvRmT1_T2_T3_mT4_P12ihipStream_tbEUlT_E1_NS1_11comp_targetILNS1_3genE5ELNS1_11target_archE942ELNS1_3gpuE9ELNS1_3repE0EEENS1_30default_config_static_selectorELNS0_4arch9wavefront6targetE1EEEvSD_ ; -- Begin function _ZN7rocprim17ROCPRIM_400000_NS6detail17trampoline_kernelINS0_14default_configENS1_22reduce_config_selectorI4bboxEEZNS1_11reduce_implILb1ES3_PS5_S8_S5_14bbox_reductionEE10hipError_tPvRmT1_T2_T3_mT4_P12ihipStream_tbEUlT_E1_NS1_11comp_targetILNS1_3genE5ELNS1_11target_archE942ELNS1_3gpuE9ELNS1_3repE0EEENS1_30default_config_static_selectorELNS0_4arch9wavefront6targetE1EEEvSD_
	.globl	_ZN7rocprim17ROCPRIM_400000_NS6detail17trampoline_kernelINS0_14default_configENS1_22reduce_config_selectorI4bboxEEZNS1_11reduce_implILb1ES3_PS5_S8_S5_14bbox_reductionEE10hipError_tPvRmT1_T2_T3_mT4_P12ihipStream_tbEUlT_E1_NS1_11comp_targetILNS1_3genE5ELNS1_11target_archE942ELNS1_3gpuE9ELNS1_3repE0EEENS1_30default_config_static_selectorELNS0_4arch9wavefront6targetE1EEEvSD_
	.p2align	8
	.type	_ZN7rocprim17ROCPRIM_400000_NS6detail17trampoline_kernelINS0_14default_configENS1_22reduce_config_selectorI4bboxEEZNS1_11reduce_implILb1ES3_PS5_S8_S5_14bbox_reductionEE10hipError_tPvRmT1_T2_T3_mT4_P12ihipStream_tbEUlT_E1_NS1_11comp_targetILNS1_3genE5ELNS1_11target_archE942ELNS1_3gpuE9ELNS1_3repE0EEENS1_30default_config_static_selectorELNS0_4arch9wavefront6targetE1EEEvSD_,@function
_ZN7rocprim17ROCPRIM_400000_NS6detail17trampoline_kernelINS0_14default_configENS1_22reduce_config_selectorI4bboxEEZNS1_11reduce_implILb1ES3_PS5_S8_S5_14bbox_reductionEE10hipError_tPvRmT1_T2_T3_mT4_P12ihipStream_tbEUlT_E1_NS1_11comp_targetILNS1_3genE5ELNS1_11target_archE942ELNS1_3gpuE9ELNS1_3repE0EEENS1_30default_config_static_selectorELNS0_4arch9wavefront6targetE1EEEvSD_: ; @_ZN7rocprim17ROCPRIM_400000_NS6detail17trampoline_kernelINS0_14default_configENS1_22reduce_config_selectorI4bboxEEZNS1_11reduce_implILb1ES3_PS5_S8_S5_14bbox_reductionEE10hipError_tPvRmT1_T2_T3_mT4_P12ihipStream_tbEUlT_E1_NS1_11comp_targetILNS1_3genE5ELNS1_11target_archE942ELNS1_3gpuE9ELNS1_3repE0EEENS1_30default_config_static_selectorELNS0_4arch9wavefront6targetE1EEEvSD_
; %bb.0:
	.section	.rodata,"a",@progbits
	.p2align	6, 0x0
	.amdhsa_kernel _ZN7rocprim17ROCPRIM_400000_NS6detail17trampoline_kernelINS0_14default_configENS1_22reduce_config_selectorI4bboxEEZNS1_11reduce_implILb1ES3_PS5_S8_S5_14bbox_reductionEE10hipError_tPvRmT1_T2_T3_mT4_P12ihipStream_tbEUlT_E1_NS1_11comp_targetILNS1_3genE5ELNS1_11target_archE942ELNS1_3gpuE9ELNS1_3repE0EEENS1_30default_config_static_selectorELNS0_4arch9wavefront6targetE1EEEvSD_
		.amdhsa_group_segment_fixed_size 0
		.amdhsa_private_segment_fixed_size 0
		.amdhsa_kernarg_size 56
		.amdhsa_user_sgpr_count 6
		.amdhsa_user_sgpr_private_segment_buffer 1
		.amdhsa_user_sgpr_dispatch_ptr 0
		.amdhsa_user_sgpr_queue_ptr 0
		.amdhsa_user_sgpr_kernarg_segment_ptr 1
		.amdhsa_user_sgpr_dispatch_id 0
		.amdhsa_user_sgpr_flat_scratch_init 0
		.amdhsa_user_sgpr_private_segment_size 0
		.amdhsa_uses_dynamic_stack 0
		.amdhsa_system_sgpr_private_segment_wavefront_offset 0
		.amdhsa_system_sgpr_workgroup_id_x 1
		.amdhsa_system_sgpr_workgroup_id_y 0
		.amdhsa_system_sgpr_workgroup_id_z 0
		.amdhsa_system_sgpr_workgroup_info 0
		.amdhsa_system_vgpr_workitem_id 0
		.amdhsa_next_free_vgpr 1
		.amdhsa_next_free_sgpr 0
		.amdhsa_reserve_vcc 0
		.amdhsa_reserve_flat_scratch 0
		.amdhsa_float_round_mode_32 0
		.amdhsa_float_round_mode_16_64 0
		.amdhsa_float_denorm_mode_32 3
		.amdhsa_float_denorm_mode_16_64 3
		.amdhsa_dx10_clamp 1
		.amdhsa_ieee_mode 1
		.amdhsa_fp16_overflow 0
		.amdhsa_exception_fp_ieee_invalid_op 0
		.amdhsa_exception_fp_denorm_src 0
		.amdhsa_exception_fp_ieee_div_zero 0
		.amdhsa_exception_fp_ieee_overflow 0
		.amdhsa_exception_fp_ieee_underflow 0
		.amdhsa_exception_fp_ieee_inexact 0
		.amdhsa_exception_int_div_zero 0
	.end_amdhsa_kernel
	.section	.text._ZN7rocprim17ROCPRIM_400000_NS6detail17trampoline_kernelINS0_14default_configENS1_22reduce_config_selectorI4bboxEEZNS1_11reduce_implILb1ES3_PS5_S8_S5_14bbox_reductionEE10hipError_tPvRmT1_T2_T3_mT4_P12ihipStream_tbEUlT_E1_NS1_11comp_targetILNS1_3genE5ELNS1_11target_archE942ELNS1_3gpuE9ELNS1_3repE0EEENS1_30default_config_static_selectorELNS0_4arch9wavefront6targetE1EEEvSD_,"axG",@progbits,_ZN7rocprim17ROCPRIM_400000_NS6detail17trampoline_kernelINS0_14default_configENS1_22reduce_config_selectorI4bboxEEZNS1_11reduce_implILb1ES3_PS5_S8_S5_14bbox_reductionEE10hipError_tPvRmT1_T2_T3_mT4_P12ihipStream_tbEUlT_E1_NS1_11comp_targetILNS1_3genE5ELNS1_11target_archE942ELNS1_3gpuE9ELNS1_3repE0EEENS1_30default_config_static_selectorELNS0_4arch9wavefront6targetE1EEEvSD_,comdat
.Lfunc_end12:
	.size	_ZN7rocprim17ROCPRIM_400000_NS6detail17trampoline_kernelINS0_14default_configENS1_22reduce_config_selectorI4bboxEEZNS1_11reduce_implILb1ES3_PS5_S8_S5_14bbox_reductionEE10hipError_tPvRmT1_T2_T3_mT4_P12ihipStream_tbEUlT_E1_NS1_11comp_targetILNS1_3genE5ELNS1_11target_archE942ELNS1_3gpuE9ELNS1_3repE0EEENS1_30default_config_static_selectorELNS0_4arch9wavefront6targetE1EEEvSD_, .Lfunc_end12-_ZN7rocprim17ROCPRIM_400000_NS6detail17trampoline_kernelINS0_14default_configENS1_22reduce_config_selectorI4bboxEEZNS1_11reduce_implILb1ES3_PS5_S8_S5_14bbox_reductionEE10hipError_tPvRmT1_T2_T3_mT4_P12ihipStream_tbEUlT_E1_NS1_11comp_targetILNS1_3genE5ELNS1_11target_archE942ELNS1_3gpuE9ELNS1_3repE0EEENS1_30default_config_static_selectorELNS0_4arch9wavefront6targetE1EEEvSD_
                                        ; -- End function
	.set _ZN7rocprim17ROCPRIM_400000_NS6detail17trampoline_kernelINS0_14default_configENS1_22reduce_config_selectorI4bboxEEZNS1_11reduce_implILb1ES3_PS5_S8_S5_14bbox_reductionEE10hipError_tPvRmT1_T2_T3_mT4_P12ihipStream_tbEUlT_E1_NS1_11comp_targetILNS1_3genE5ELNS1_11target_archE942ELNS1_3gpuE9ELNS1_3repE0EEENS1_30default_config_static_selectorELNS0_4arch9wavefront6targetE1EEEvSD_.num_vgpr, 0
	.set _ZN7rocprim17ROCPRIM_400000_NS6detail17trampoline_kernelINS0_14default_configENS1_22reduce_config_selectorI4bboxEEZNS1_11reduce_implILb1ES3_PS5_S8_S5_14bbox_reductionEE10hipError_tPvRmT1_T2_T3_mT4_P12ihipStream_tbEUlT_E1_NS1_11comp_targetILNS1_3genE5ELNS1_11target_archE942ELNS1_3gpuE9ELNS1_3repE0EEENS1_30default_config_static_selectorELNS0_4arch9wavefront6targetE1EEEvSD_.num_agpr, 0
	.set _ZN7rocprim17ROCPRIM_400000_NS6detail17trampoline_kernelINS0_14default_configENS1_22reduce_config_selectorI4bboxEEZNS1_11reduce_implILb1ES3_PS5_S8_S5_14bbox_reductionEE10hipError_tPvRmT1_T2_T3_mT4_P12ihipStream_tbEUlT_E1_NS1_11comp_targetILNS1_3genE5ELNS1_11target_archE942ELNS1_3gpuE9ELNS1_3repE0EEENS1_30default_config_static_selectorELNS0_4arch9wavefront6targetE1EEEvSD_.numbered_sgpr, 0
	.set _ZN7rocprim17ROCPRIM_400000_NS6detail17trampoline_kernelINS0_14default_configENS1_22reduce_config_selectorI4bboxEEZNS1_11reduce_implILb1ES3_PS5_S8_S5_14bbox_reductionEE10hipError_tPvRmT1_T2_T3_mT4_P12ihipStream_tbEUlT_E1_NS1_11comp_targetILNS1_3genE5ELNS1_11target_archE942ELNS1_3gpuE9ELNS1_3repE0EEENS1_30default_config_static_selectorELNS0_4arch9wavefront6targetE1EEEvSD_.num_named_barrier, 0
	.set _ZN7rocprim17ROCPRIM_400000_NS6detail17trampoline_kernelINS0_14default_configENS1_22reduce_config_selectorI4bboxEEZNS1_11reduce_implILb1ES3_PS5_S8_S5_14bbox_reductionEE10hipError_tPvRmT1_T2_T3_mT4_P12ihipStream_tbEUlT_E1_NS1_11comp_targetILNS1_3genE5ELNS1_11target_archE942ELNS1_3gpuE9ELNS1_3repE0EEENS1_30default_config_static_selectorELNS0_4arch9wavefront6targetE1EEEvSD_.private_seg_size, 0
	.set _ZN7rocprim17ROCPRIM_400000_NS6detail17trampoline_kernelINS0_14default_configENS1_22reduce_config_selectorI4bboxEEZNS1_11reduce_implILb1ES3_PS5_S8_S5_14bbox_reductionEE10hipError_tPvRmT1_T2_T3_mT4_P12ihipStream_tbEUlT_E1_NS1_11comp_targetILNS1_3genE5ELNS1_11target_archE942ELNS1_3gpuE9ELNS1_3repE0EEENS1_30default_config_static_selectorELNS0_4arch9wavefront6targetE1EEEvSD_.uses_vcc, 0
	.set _ZN7rocprim17ROCPRIM_400000_NS6detail17trampoline_kernelINS0_14default_configENS1_22reduce_config_selectorI4bboxEEZNS1_11reduce_implILb1ES3_PS5_S8_S5_14bbox_reductionEE10hipError_tPvRmT1_T2_T3_mT4_P12ihipStream_tbEUlT_E1_NS1_11comp_targetILNS1_3genE5ELNS1_11target_archE942ELNS1_3gpuE9ELNS1_3repE0EEENS1_30default_config_static_selectorELNS0_4arch9wavefront6targetE1EEEvSD_.uses_flat_scratch, 0
	.set _ZN7rocprim17ROCPRIM_400000_NS6detail17trampoline_kernelINS0_14default_configENS1_22reduce_config_selectorI4bboxEEZNS1_11reduce_implILb1ES3_PS5_S8_S5_14bbox_reductionEE10hipError_tPvRmT1_T2_T3_mT4_P12ihipStream_tbEUlT_E1_NS1_11comp_targetILNS1_3genE5ELNS1_11target_archE942ELNS1_3gpuE9ELNS1_3repE0EEENS1_30default_config_static_selectorELNS0_4arch9wavefront6targetE1EEEvSD_.has_dyn_sized_stack, 0
	.set _ZN7rocprim17ROCPRIM_400000_NS6detail17trampoline_kernelINS0_14default_configENS1_22reduce_config_selectorI4bboxEEZNS1_11reduce_implILb1ES3_PS5_S8_S5_14bbox_reductionEE10hipError_tPvRmT1_T2_T3_mT4_P12ihipStream_tbEUlT_E1_NS1_11comp_targetILNS1_3genE5ELNS1_11target_archE942ELNS1_3gpuE9ELNS1_3repE0EEENS1_30default_config_static_selectorELNS0_4arch9wavefront6targetE1EEEvSD_.has_recursion, 0
	.set _ZN7rocprim17ROCPRIM_400000_NS6detail17trampoline_kernelINS0_14default_configENS1_22reduce_config_selectorI4bboxEEZNS1_11reduce_implILb1ES3_PS5_S8_S5_14bbox_reductionEE10hipError_tPvRmT1_T2_T3_mT4_P12ihipStream_tbEUlT_E1_NS1_11comp_targetILNS1_3genE5ELNS1_11target_archE942ELNS1_3gpuE9ELNS1_3repE0EEENS1_30default_config_static_selectorELNS0_4arch9wavefront6targetE1EEEvSD_.has_indirect_call, 0
	.section	.AMDGPU.csdata,"",@progbits
; Kernel info:
; codeLenInByte = 0
; TotalNumSgprs: 4
; NumVgprs: 0
; ScratchSize: 0
; MemoryBound: 0
; FloatMode: 240
; IeeeMode: 1
; LDSByteSize: 0 bytes/workgroup (compile time only)
; SGPRBlocks: 0
; VGPRBlocks: 0
; NumSGPRsForWavesPerEU: 4
; NumVGPRsForWavesPerEU: 1
; Occupancy: 10
; WaveLimiterHint : 0
; COMPUTE_PGM_RSRC2:SCRATCH_EN: 0
; COMPUTE_PGM_RSRC2:USER_SGPR: 6
; COMPUTE_PGM_RSRC2:TRAP_HANDLER: 0
; COMPUTE_PGM_RSRC2:TGID_X_EN: 1
; COMPUTE_PGM_RSRC2:TGID_Y_EN: 0
; COMPUTE_PGM_RSRC2:TGID_Z_EN: 0
; COMPUTE_PGM_RSRC2:TIDIG_COMP_CNT: 0
	.section	.text._ZN7rocprim17ROCPRIM_400000_NS6detail17trampoline_kernelINS0_14default_configENS1_22reduce_config_selectorI4bboxEEZNS1_11reduce_implILb1ES3_PS5_S8_S5_14bbox_reductionEE10hipError_tPvRmT1_T2_T3_mT4_P12ihipStream_tbEUlT_E1_NS1_11comp_targetILNS1_3genE4ELNS1_11target_archE910ELNS1_3gpuE8ELNS1_3repE0EEENS1_30default_config_static_selectorELNS0_4arch9wavefront6targetE1EEEvSD_,"axG",@progbits,_ZN7rocprim17ROCPRIM_400000_NS6detail17trampoline_kernelINS0_14default_configENS1_22reduce_config_selectorI4bboxEEZNS1_11reduce_implILb1ES3_PS5_S8_S5_14bbox_reductionEE10hipError_tPvRmT1_T2_T3_mT4_P12ihipStream_tbEUlT_E1_NS1_11comp_targetILNS1_3genE4ELNS1_11target_archE910ELNS1_3gpuE8ELNS1_3repE0EEENS1_30default_config_static_selectorELNS0_4arch9wavefront6targetE1EEEvSD_,comdat
	.protected	_ZN7rocprim17ROCPRIM_400000_NS6detail17trampoline_kernelINS0_14default_configENS1_22reduce_config_selectorI4bboxEEZNS1_11reduce_implILb1ES3_PS5_S8_S5_14bbox_reductionEE10hipError_tPvRmT1_T2_T3_mT4_P12ihipStream_tbEUlT_E1_NS1_11comp_targetILNS1_3genE4ELNS1_11target_archE910ELNS1_3gpuE8ELNS1_3repE0EEENS1_30default_config_static_selectorELNS0_4arch9wavefront6targetE1EEEvSD_ ; -- Begin function _ZN7rocprim17ROCPRIM_400000_NS6detail17trampoline_kernelINS0_14default_configENS1_22reduce_config_selectorI4bboxEEZNS1_11reduce_implILb1ES3_PS5_S8_S5_14bbox_reductionEE10hipError_tPvRmT1_T2_T3_mT4_P12ihipStream_tbEUlT_E1_NS1_11comp_targetILNS1_3genE4ELNS1_11target_archE910ELNS1_3gpuE8ELNS1_3repE0EEENS1_30default_config_static_selectorELNS0_4arch9wavefront6targetE1EEEvSD_
	.globl	_ZN7rocprim17ROCPRIM_400000_NS6detail17trampoline_kernelINS0_14default_configENS1_22reduce_config_selectorI4bboxEEZNS1_11reduce_implILb1ES3_PS5_S8_S5_14bbox_reductionEE10hipError_tPvRmT1_T2_T3_mT4_P12ihipStream_tbEUlT_E1_NS1_11comp_targetILNS1_3genE4ELNS1_11target_archE910ELNS1_3gpuE8ELNS1_3repE0EEENS1_30default_config_static_selectorELNS0_4arch9wavefront6targetE1EEEvSD_
	.p2align	8
	.type	_ZN7rocprim17ROCPRIM_400000_NS6detail17trampoline_kernelINS0_14default_configENS1_22reduce_config_selectorI4bboxEEZNS1_11reduce_implILb1ES3_PS5_S8_S5_14bbox_reductionEE10hipError_tPvRmT1_T2_T3_mT4_P12ihipStream_tbEUlT_E1_NS1_11comp_targetILNS1_3genE4ELNS1_11target_archE910ELNS1_3gpuE8ELNS1_3repE0EEENS1_30default_config_static_selectorELNS0_4arch9wavefront6targetE1EEEvSD_,@function
_ZN7rocprim17ROCPRIM_400000_NS6detail17trampoline_kernelINS0_14default_configENS1_22reduce_config_selectorI4bboxEEZNS1_11reduce_implILb1ES3_PS5_S8_S5_14bbox_reductionEE10hipError_tPvRmT1_T2_T3_mT4_P12ihipStream_tbEUlT_E1_NS1_11comp_targetILNS1_3genE4ELNS1_11target_archE910ELNS1_3gpuE8ELNS1_3repE0EEENS1_30default_config_static_selectorELNS0_4arch9wavefront6targetE1EEEvSD_: ; @_ZN7rocprim17ROCPRIM_400000_NS6detail17trampoline_kernelINS0_14default_configENS1_22reduce_config_selectorI4bboxEEZNS1_11reduce_implILb1ES3_PS5_S8_S5_14bbox_reductionEE10hipError_tPvRmT1_T2_T3_mT4_P12ihipStream_tbEUlT_E1_NS1_11comp_targetILNS1_3genE4ELNS1_11target_archE910ELNS1_3gpuE8ELNS1_3repE0EEENS1_30default_config_static_selectorELNS0_4arch9wavefront6targetE1EEEvSD_
; %bb.0:
	.section	.rodata,"a",@progbits
	.p2align	6, 0x0
	.amdhsa_kernel _ZN7rocprim17ROCPRIM_400000_NS6detail17trampoline_kernelINS0_14default_configENS1_22reduce_config_selectorI4bboxEEZNS1_11reduce_implILb1ES3_PS5_S8_S5_14bbox_reductionEE10hipError_tPvRmT1_T2_T3_mT4_P12ihipStream_tbEUlT_E1_NS1_11comp_targetILNS1_3genE4ELNS1_11target_archE910ELNS1_3gpuE8ELNS1_3repE0EEENS1_30default_config_static_selectorELNS0_4arch9wavefront6targetE1EEEvSD_
		.amdhsa_group_segment_fixed_size 0
		.amdhsa_private_segment_fixed_size 0
		.amdhsa_kernarg_size 56
		.amdhsa_user_sgpr_count 6
		.amdhsa_user_sgpr_private_segment_buffer 1
		.amdhsa_user_sgpr_dispatch_ptr 0
		.amdhsa_user_sgpr_queue_ptr 0
		.amdhsa_user_sgpr_kernarg_segment_ptr 1
		.amdhsa_user_sgpr_dispatch_id 0
		.amdhsa_user_sgpr_flat_scratch_init 0
		.amdhsa_user_sgpr_private_segment_size 0
		.amdhsa_uses_dynamic_stack 0
		.amdhsa_system_sgpr_private_segment_wavefront_offset 0
		.amdhsa_system_sgpr_workgroup_id_x 1
		.amdhsa_system_sgpr_workgroup_id_y 0
		.amdhsa_system_sgpr_workgroup_id_z 0
		.amdhsa_system_sgpr_workgroup_info 0
		.amdhsa_system_vgpr_workitem_id 0
		.amdhsa_next_free_vgpr 1
		.amdhsa_next_free_sgpr 0
		.amdhsa_reserve_vcc 0
		.amdhsa_reserve_flat_scratch 0
		.amdhsa_float_round_mode_32 0
		.amdhsa_float_round_mode_16_64 0
		.amdhsa_float_denorm_mode_32 3
		.amdhsa_float_denorm_mode_16_64 3
		.amdhsa_dx10_clamp 1
		.amdhsa_ieee_mode 1
		.amdhsa_fp16_overflow 0
		.amdhsa_exception_fp_ieee_invalid_op 0
		.amdhsa_exception_fp_denorm_src 0
		.amdhsa_exception_fp_ieee_div_zero 0
		.amdhsa_exception_fp_ieee_overflow 0
		.amdhsa_exception_fp_ieee_underflow 0
		.amdhsa_exception_fp_ieee_inexact 0
		.amdhsa_exception_int_div_zero 0
	.end_amdhsa_kernel
	.section	.text._ZN7rocprim17ROCPRIM_400000_NS6detail17trampoline_kernelINS0_14default_configENS1_22reduce_config_selectorI4bboxEEZNS1_11reduce_implILb1ES3_PS5_S8_S5_14bbox_reductionEE10hipError_tPvRmT1_T2_T3_mT4_P12ihipStream_tbEUlT_E1_NS1_11comp_targetILNS1_3genE4ELNS1_11target_archE910ELNS1_3gpuE8ELNS1_3repE0EEENS1_30default_config_static_selectorELNS0_4arch9wavefront6targetE1EEEvSD_,"axG",@progbits,_ZN7rocprim17ROCPRIM_400000_NS6detail17trampoline_kernelINS0_14default_configENS1_22reduce_config_selectorI4bboxEEZNS1_11reduce_implILb1ES3_PS5_S8_S5_14bbox_reductionEE10hipError_tPvRmT1_T2_T3_mT4_P12ihipStream_tbEUlT_E1_NS1_11comp_targetILNS1_3genE4ELNS1_11target_archE910ELNS1_3gpuE8ELNS1_3repE0EEENS1_30default_config_static_selectorELNS0_4arch9wavefront6targetE1EEEvSD_,comdat
.Lfunc_end13:
	.size	_ZN7rocprim17ROCPRIM_400000_NS6detail17trampoline_kernelINS0_14default_configENS1_22reduce_config_selectorI4bboxEEZNS1_11reduce_implILb1ES3_PS5_S8_S5_14bbox_reductionEE10hipError_tPvRmT1_T2_T3_mT4_P12ihipStream_tbEUlT_E1_NS1_11comp_targetILNS1_3genE4ELNS1_11target_archE910ELNS1_3gpuE8ELNS1_3repE0EEENS1_30default_config_static_selectorELNS0_4arch9wavefront6targetE1EEEvSD_, .Lfunc_end13-_ZN7rocprim17ROCPRIM_400000_NS6detail17trampoline_kernelINS0_14default_configENS1_22reduce_config_selectorI4bboxEEZNS1_11reduce_implILb1ES3_PS5_S8_S5_14bbox_reductionEE10hipError_tPvRmT1_T2_T3_mT4_P12ihipStream_tbEUlT_E1_NS1_11comp_targetILNS1_3genE4ELNS1_11target_archE910ELNS1_3gpuE8ELNS1_3repE0EEENS1_30default_config_static_selectorELNS0_4arch9wavefront6targetE1EEEvSD_
                                        ; -- End function
	.set _ZN7rocprim17ROCPRIM_400000_NS6detail17trampoline_kernelINS0_14default_configENS1_22reduce_config_selectorI4bboxEEZNS1_11reduce_implILb1ES3_PS5_S8_S5_14bbox_reductionEE10hipError_tPvRmT1_T2_T3_mT4_P12ihipStream_tbEUlT_E1_NS1_11comp_targetILNS1_3genE4ELNS1_11target_archE910ELNS1_3gpuE8ELNS1_3repE0EEENS1_30default_config_static_selectorELNS0_4arch9wavefront6targetE1EEEvSD_.num_vgpr, 0
	.set _ZN7rocprim17ROCPRIM_400000_NS6detail17trampoline_kernelINS0_14default_configENS1_22reduce_config_selectorI4bboxEEZNS1_11reduce_implILb1ES3_PS5_S8_S5_14bbox_reductionEE10hipError_tPvRmT1_T2_T3_mT4_P12ihipStream_tbEUlT_E1_NS1_11comp_targetILNS1_3genE4ELNS1_11target_archE910ELNS1_3gpuE8ELNS1_3repE0EEENS1_30default_config_static_selectorELNS0_4arch9wavefront6targetE1EEEvSD_.num_agpr, 0
	.set _ZN7rocprim17ROCPRIM_400000_NS6detail17trampoline_kernelINS0_14default_configENS1_22reduce_config_selectorI4bboxEEZNS1_11reduce_implILb1ES3_PS5_S8_S5_14bbox_reductionEE10hipError_tPvRmT1_T2_T3_mT4_P12ihipStream_tbEUlT_E1_NS1_11comp_targetILNS1_3genE4ELNS1_11target_archE910ELNS1_3gpuE8ELNS1_3repE0EEENS1_30default_config_static_selectorELNS0_4arch9wavefront6targetE1EEEvSD_.numbered_sgpr, 0
	.set _ZN7rocprim17ROCPRIM_400000_NS6detail17trampoline_kernelINS0_14default_configENS1_22reduce_config_selectorI4bboxEEZNS1_11reduce_implILb1ES3_PS5_S8_S5_14bbox_reductionEE10hipError_tPvRmT1_T2_T3_mT4_P12ihipStream_tbEUlT_E1_NS1_11comp_targetILNS1_3genE4ELNS1_11target_archE910ELNS1_3gpuE8ELNS1_3repE0EEENS1_30default_config_static_selectorELNS0_4arch9wavefront6targetE1EEEvSD_.num_named_barrier, 0
	.set _ZN7rocprim17ROCPRIM_400000_NS6detail17trampoline_kernelINS0_14default_configENS1_22reduce_config_selectorI4bboxEEZNS1_11reduce_implILb1ES3_PS5_S8_S5_14bbox_reductionEE10hipError_tPvRmT1_T2_T3_mT4_P12ihipStream_tbEUlT_E1_NS1_11comp_targetILNS1_3genE4ELNS1_11target_archE910ELNS1_3gpuE8ELNS1_3repE0EEENS1_30default_config_static_selectorELNS0_4arch9wavefront6targetE1EEEvSD_.private_seg_size, 0
	.set _ZN7rocprim17ROCPRIM_400000_NS6detail17trampoline_kernelINS0_14default_configENS1_22reduce_config_selectorI4bboxEEZNS1_11reduce_implILb1ES3_PS5_S8_S5_14bbox_reductionEE10hipError_tPvRmT1_T2_T3_mT4_P12ihipStream_tbEUlT_E1_NS1_11comp_targetILNS1_3genE4ELNS1_11target_archE910ELNS1_3gpuE8ELNS1_3repE0EEENS1_30default_config_static_selectorELNS0_4arch9wavefront6targetE1EEEvSD_.uses_vcc, 0
	.set _ZN7rocprim17ROCPRIM_400000_NS6detail17trampoline_kernelINS0_14default_configENS1_22reduce_config_selectorI4bboxEEZNS1_11reduce_implILb1ES3_PS5_S8_S5_14bbox_reductionEE10hipError_tPvRmT1_T2_T3_mT4_P12ihipStream_tbEUlT_E1_NS1_11comp_targetILNS1_3genE4ELNS1_11target_archE910ELNS1_3gpuE8ELNS1_3repE0EEENS1_30default_config_static_selectorELNS0_4arch9wavefront6targetE1EEEvSD_.uses_flat_scratch, 0
	.set _ZN7rocprim17ROCPRIM_400000_NS6detail17trampoline_kernelINS0_14default_configENS1_22reduce_config_selectorI4bboxEEZNS1_11reduce_implILb1ES3_PS5_S8_S5_14bbox_reductionEE10hipError_tPvRmT1_T2_T3_mT4_P12ihipStream_tbEUlT_E1_NS1_11comp_targetILNS1_3genE4ELNS1_11target_archE910ELNS1_3gpuE8ELNS1_3repE0EEENS1_30default_config_static_selectorELNS0_4arch9wavefront6targetE1EEEvSD_.has_dyn_sized_stack, 0
	.set _ZN7rocprim17ROCPRIM_400000_NS6detail17trampoline_kernelINS0_14default_configENS1_22reduce_config_selectorI4bboxEEZNS1_11reduce_implILb1ES3_PS5_S8_S5_14bbox_reductionEE10hipError_tPvRmT1_T2_T3_mT4_P12ihipStream_tbEUlT_E1_NS1_11comp_targetILNS1_3genE4ELNS1_11target_archE910ELNS1_3gpuE8ELNS1_3repE0EEENS1_30default_config_static_selectorELNS0_4arch9wavefront6targetE1EEEvSD_.has_recursion, 0
	.set _ZN7rocprim17ROCPRIM_400000_NS6detail17trampoline_kernelINS0_14default_configENS1_22reduce_config_selectorI4bboxEEZNS1_11reduce_implILb1ES3_PS5_S8_S5_14bbox_reductionEE10hipError_tPvRmT1_T2_T3_mT4_P12ihipStream_tbEUlT_E1_NS1_11comp_targetILNS1_3genE4ELNS1_11target_archE910ELNS1_3gpuE8ELNS1_3repE0EEENS1_30default_config_static_selectorELNS0_4arch9wavefront6targetE1EEEvSD_.has_indirect_call, 0
	.section	.AMDGPU.csdata,"",@progbits
; Kernel info:
; codeLenInByte = 0
; TotalNumSgprs: 4
; NumVgprs: 0
; ScratchSize: 0
; MemoryBound: 0
; FloatMode: 240
; IeeeMode: 1
; LDSByteSize: 0 bytes/workgroup (compile time only)
; SGPRBlocks: 0
; VGPRBlocks: 0
; NumSGPRsForWavesPerEU: 4
; NumVGPRsForWavesPerEU: 1
; Occupancy: 10
; WaveLimiterHint : 0
; COMPUTE_PGM_RSRC2:SCRATCH_EN: 0
; COMPUTE_PGM_RSRC2:USER_SGPR: 6
; COMPUTE_PGM_RSRC2:TRAP_HANDLER: 0
; COMPUTE_PGM_RSRC2:TGID_X_EN: 1
; COMPUTE_PGM_RSRC2:TGID_Y_EN: 0
; COMPUTE_PGM_RSRC2:TGID_Z_EN: 0
; COMPUTE_PGM_RSRC2:TIDIG_COMP_CNT: 0
	.section	.text._ZN7rocprim17ROCPRIM_400000_NS6detail17trampoline_kernelINS0_14default_configENS1_22reduce_config_selectorI4bboxEEZNS1_11reduce_implILb1ES3_PS5_S8_S5_14bbox_reductionEE10hipError_tPvRmT1_T2_T3_mT4_P12ihipStream_tbEUlT_E1_NS1_11comp_targetILNS1_3genE3ELNS1_11target_archE908ELNS1_3gpuE7ELNS1_3repE0EEENS1_30default_config_static_selectorELNS0_4arch9wavefront6targetE1EEEvSD_,"axG",@progbits,_ZN7rocprim17ROCPRIM_400000_NS6detail17trampoline_kernelINS0_14default_configENS1_22reduce_config_selectorI4bboxEEZNS1_11reduce_implILb1ES3_PS5_S8_S5_14bbox_reductionEE10hipError_tPvRmT1_T2_T3_mT4_P12ihipStream_tbEUlT_E1_NS1_11comp_targetILNS1_3genE3ELNS1_11target_archE908ELNS1_3gpuE7ELNS1_3repE0EEENS1_30default_config_static_selectorELNS0_4arch9wavefront6targetE1EEEvSD_,comdat
	.protected	_ZN7rocprim17ROCPRIM_400000_NS6detail17trampoline_kernelINS0_14default_configENS1_22reduce_config_selectorI4bboxEEZNS1_11reduce_implILb1ES3_PS5_S8_S5_14bbox_reductionEE10hipError_tPvRmT1_T2_T3_mT4_P12ihipStream_tbEUlT_E1_NS1_11comp_targetILNS1_3genE3ELNS1_11target_archE908ELNS1_3gpuE7ELNS1_3repE0EEENS1_30default_config_static_selectorELNS0_4arch9wavefront6targetE1EEEvSD_ ; -- Begin function _ZN7rocprim17ROCPRIM_400000_NS6detail17trampoline_kernelINS0_14default_configENS1_22reduce_config_selectorI4bboxEEZNS1_11reduce_implILb1ES3_PS5_S8_S5_14bbox_reductionEE10hipError_tPvRmT1_T2_T3_mT4_P12ihipStream_tbEUlT_E1_NS1_11comp_targetILNS1_3genE3ELNS1_11target_archE908ELNS1_3gpuE7ELNS1_3repE0EEENS1_30default_config_static_selectorELNS0_4arch9wavefront6targetE1EEEvSD_
	.globl	_ZN7rocprim17ROCPRIM_400000_NS6detail17trampoline_kernelINS0_14default_configENS1_22reduce_config_selectorI4bboxEEZNS1_11reduce_implILb1ES3_PS5_S8_S5_14bbox_reductionEE10hipError_tPvRmT1_T2_T3_mT4_P12ihipStream_tbEUlT_E1_NS1_11comp_targetILNS1_3genE3ELNS1_11target_archE908ELNS1_3gpuE7ELNS1_3repE0EEENS1_30default_config_static_selectorELNS0_4arch9wavefront6targetE1EEEvSD_
	.p2align	8
	.type	_ZN7rocprim17ROCPRIM_400000_NS6detail17trampoline_kernelINS0_14default_configENS1_22reduce_config_selectorI4bboxEEZNS1_11reduce_implILb1ES3_PS5_S8_S5_14bbox_reductionEE10hipError_tPvRmT1_T2_T3_mT4_P12ihipStream_tbEUlT_E1_NS1_11comp_targetILNS1_3genE3ELNS1_11target_archE908ELNS1_3gpuE7ELNS1_3repE0EEENS1_30default_config_static_selectorELNS0_4arch9wavefront6targetE1EEEvSD_,@function
_ZN7rocprim17ROCPRIM_400000_NS6detail17trampoline_kernelINS0_14default_configENS1_22reduce_config_selectorI4bboxEEZNS1_11reduce_implILb1ES3_PS5_S8_S5_14bbox_reductionEE10hipError_tPvRmT1_T2_T3_mT4_P12ihipStream_tbEUlT_E1_NS1_11comp_targetILNS1_3genE3ELNS1_11target_archE908ELNS1_3gpuE7ELNS1_3repE0EEENS1_30default_config_static_selectorELNS0_4arch9wavefront6targetE1EEEvSD_: ; @_ZN7rocprim17ROCPRIM_400000_NS6detail17trampoline_kernelINS0_14default_configENS1_22reduce_config_selectorI4bboxEEZNS1_11reduce_implILb1ES3_PS5_S8_S5_14bbox_reductionEE10hipError_tPvRmT1_T2_T3_mT4_P12ihipStream_tbEUlT_E1_NS1_11comp_targetILNS1_3genE3ELNS1_11target_archE908ELNS1_3gpuE7ELNS1_3repE0EEENS1_30default_config_static_selectorELNS0_4arch9wavefront6targetE1EEEvSD_
; %bb.0:
	.section	.rodata,"a",@progbits
	.p2align	6, 0x0
	.amdhsa_kernel _ZN7rocprim17ROCPRIM_400000_NS6detail17trampoline_kernelINS0_14default_configENS1_22reduce_config_selectorI4bboxEEZNS1_11reduce_implILb1ES3_PS5_S8_S5_14bbox_reductionEE10hipError_tPvRmT1_T2_T3_mT4_P12ihipStream_tbEUlT_E1_NS1_11comp_targetILNS1_3genE3ELNS1_11target_archE908ELNS1_3gpuE7ELNS1_3repE0EEENS1_30default_config_static_selectorELNS0_4arch9wavefront6targetE1EEEvSD_
		.amdhsa_group_segment_fixed_size 0
		.amdhsa_private_segment_fixed_size 0
		.amdhsa_kernarg_size 56
		.amdhsa_user_sgpr_count 6
		.amdhsa_user_sgpr_private_segment_buffer 1
		.amdhsa_user_sgpr_dispatch_ptr 0
		.amdhsa_user_sgpr_queue_ptr 0
		.amdhsa_user_sgpr_kernarg_segment_ptr 1
		.amdhsa_user_sgpr_dispatch_id 0
		.amdhsa_user_sgpr_flat_scratch_init 0
		.amdhsa_user_sgpr_private_segment_size 0
		.amdhsa_uses_dynamic_stack 0
		.amdhsa_system_sgpr_private_segment_wavefront_offset 0
		.amdhsa_system_sgpr_workgroup_id_x 1
		.amdhsa_system_sgpr_workgroup_id_y 0
		.amdhsa_system_sgpr_workgroup_id_z 0
		.amdhsa_system_sgpr_workgroup_info 0
		.amdhsa_system_vgpr_workitem_id 0
		.amdhsa_next_free_vgpr 1
		.amdhsa_next_free_sgpr 0
		.amdhsa_reserve_vcc 0
		.amdhsa_reserve_flat_scratch 0
		.amdhsa_float_round_mode_32 0
		.amdhsa_float_round_mode_16_64 0
		.amdhsa_float_denorm_mode_32 3
		.amdhsa_float_denorm_mode_16_64 3
		.amdhsa_dx10_clamp 1
		.amdhsa_ieee_mode 1
		.amdhsa_fp16_overflow 0
		.amdhsa_exception_fp_ieee_invalid_op 0
		.amdhsa_exception_fp_denorm_src 0
		.amdhsa_exception_fp_ieee_div_zero 0
		.amdhsa_exception_fp_ieee_overflow 0
		.amdhsa_exception_fp_ieee_underflow 0
		.amdhsa_exception_fp_ieee_inexact 0
		.amdhsa_exception_int_div_zero 0
	.end_amdhsa_kernel
	.section	.text._ZN7rocprim17ROCPRIM_400000_NS6detail17trampoline_kernelINS0_14default_configENS1_22reduce_config_selectorI4bboxEEZNS1_11reduce_implILb1ES3_PS5_S8_S5_14bbox_reductionEE10hipError_tPvRmT1_T2_T3_mT4_P12ihipStream_tbEUlT_E1_NS1_11comp_targetILNS1_3genE3ELNS1_11target_archE908ELNS1_3gpuE7ELNS1_3repE0EEENS1_30default_config_static_selectorELNS0_4arch9wavefront6targetE1EEEvSD_,"axG",@progbits,_ZN7rocprim17ROCPRIM_400000_NS6detail17trampoline_kernelINS0_14default_configENS1_22reduce_config_selectorI4bboxEEZNS1_11reduce_implILb1ES3_PS5_S8_S5_14bbox_reductionEE10hipError_tPvRmT1_T2_T3_mT4_P12ihipStream_tbEUlT_E1_NS1_11comp_targetILNS1_3genE3ELNS1_11target_archE908ELNS1_3gpuE7ELNS1_3repE0EEENS1_30default_config_static_selectorELNS0_4arch9wavefront6targetE1EEEvSD_,comdat
.Lfunc_end14:
	.size	_ZN7rocprim17ROCPRIM_400000_NS6detail17trampoline_kernelINS0_14default_configENS1_22reduce_config_selectorI4bboxEEZNS1_11reduce_implILb1ES3_PS5_S8_S5_14bbox_reductionEE10hipError_tPvRmT1_T2_T3_mT4_P12ihipStream_tbEUlT_E1_NS1_11comp_targetILNS1_3genE3ELNS1_11target_archE908ELNS1_3gpuE7ELNS1_3repE0EEENS1_30default_config_static_selectorELNS0_4arch9wavefront6targetE1EEEvSD_, .Lfunc_end14-_ZN7rocprim17ROCPRIM_400000_NS6detail17trampoline_kernelINS0_14default_configENS1_22reduce_config_selectorI4bboxEEZNS1_11reduce_implILb1ES3_PS5_S8_S5_14bbox_reductionEE10hipError_tPvRmT1_T2_T3_mT4_P12ihipStream_tbEUlT_E1_NS1_11comp_targetILNS1_3genE3ELNS1_11target_archE908ELNS1_3gpuE7ELNS1_3repE0EEENS1_30default_config_static_selectorELNS0_4arch9wavefront6targetE1EEEvSD_
                                        ; -- End function
	.set _ZN7rocprim17ROCPRIM_400000_NS6detail17trampoline_kernelINS0_14default_configENS1_22reduce_config_selectorI4bboxEEZNS1_11reduce_implILb1ES3_PS5_S8_S5_14bbox_reductionEE10hipError_tPvRmT1_T2_T3_mT4_P12ihipStream_tbEUlT_E1_NS1_11comp_targetILNS1_3genE3ELNS1_11target_archE908ELNS1_3gpuE7ELNS1_3repE0EEENS1_30default_config_static_selectorELNS0_4arch9wavefront6targetE1EEEvSD_.num_vgpr, 0
	.set _ZN7rocprim17ROCPRIM_400000_NS6detail17trampoline_kernelINS0_14default_configENS1_22reduce_config_selectorI4bboxEEZNS1_11reduce_implILb1ES3_PS5_S8_S5_14bbox_reductionEE10hipError_tPvRmT1_T2_T3_mT4_P12ihipStream_tbEUlT_E1_NS1_11comp_targetILNS1_3genE3ELNS1_11target_archE908ELNS1_3gpuE7ELNS1_3repE0EEENS1_30default_config_static_selectorELNS0_4arch9wavefront6targetE1EEEvSD_.num_agpr, 0
	.set _ZN7rocprim17ROCPRIM_400000_NS6detail17trampoline_kernelINS0_14default_configENS1_22reduce_config_selectorI4bboxEEZNS1_11reduce_implILb1ES3_PS5_S8_S5_14bbox_reductionEE10hipError_tPvRmT1_T2_T3_mT4_P12ihipStream_tbEUlT_E1_NS1_11comp_targetILNS1_3genE3ELNS1_11target_archE908ELNS1_3gpuE7ELNS1_3repE0EEENS1_30default_config_static_selectorELNS0_4arch9wavefront6targetE1EEEvSD_.numbered_sgpr, 0
	.set _ZN7rocprim17ROCPRIM_400000_NS6detail17trampoline_kernelINS0_14default_configENS1_22reduce_config_selectorI4bboxEEZNS1_11reduce_implILb1ES3_PS5_S8_S5_14bbox_reductionEE10hipError_tPvRmT1_T2_T3_mT4_P12ihipStream_tbEUlT_E1_NS1_11comp_targetILNS1_3genE3ELNS1_11target_archE908ELNS1_3gpuE7ELNS1_3repE0EEENS1_30default_config_static_selectorELNS0_4arch9wavefront6targetE1EEEvSD_.num_named_barrier, 0
	.set _ZN7rocprim17ROCPRIM_400000_NS6detail17trampoline_kernelINS0_14default_configENS1_22reduce_config_selectorI4bboxEEZNS1_11reduce_implILb1ES3_PS5_S8_S5_14bbox_reductionEE10hipError_tPvRmT1_T2_T3_mT4_P12ihipStream_tbEUlT_E1_NS1_11comp_targetILNS1_3genE3ELNS1_11target_archE908ELNS1_3gpuE7ELNS1_3repE0EEENS1_30default_config_static_selectorELNS0_4arch9wavefront6targetE1EEEvSD_.private_seg_size, 0
	.set _ZN7rocprim17ROCPRIM_400000_NS6detail17trampoline_kernelINS0_14default_configENS1_22reduce_config_selectorI4bboxEEZNS1_11reduce_implILb1ES3_PS5_S8_S5_14bbox_reductionEE10hipError_tPvRmT1_T2_T3_mT4_P12ihipStream_tbEUlT_E1_NS1_11comp_targetILNS1_3genE3ELNS1_11target_archE908ELNS1_3gpuE7ELNS1_3repE0EEENS1_30default_config_static_selectorELNS0_4arch9wavefront6targetE1EEEvSD_.uses_vcc, 0
	.set _ZN7rocprim17ROCPRIM_400000_NS6detail17trampoline_kernelINS0_14default_configENS1_22reduce_config_selectorI4bboxEEZNS1_11reduce_implILb1ES3_PS5_S8_S5_14bbox_reductionEE10hipError_tPvRmT1_T2_T3_mT4_P12ihipStream_tbEUlT_E1_NS1_11comp_targetILNS1_3genE3ELNS1_11target_archE908ELNS1_3gpuE7ELNS1_3repE0EEENS1_30default_config_static_selectorELNS0_4arch9wavefront6targetE1EEEvSD_.uses_flat_scratch, 0
	.set _ZN7rocprim17ROCPRIM_400000_NS6detail17trampoline_kernelINS0_14default_configENS1_22reduce_config_selectorI4bboxEEZNS1_11reduce_implILb1ES3_PS5_S8_S5_14bbox_reductionEE10hipError_tPvRmT1_T2_T3_mT4_P12ihipStream_tbEUlT_E1_NS1_11comp_targetILNS1_3genE3ELNS1_11target_archE908ELNS1_3gpuE7ELNS1_3repE0EEENS1_30default_config_static_selectorELNS0_4arch9wavefront6targetE1EEEvSD_.has_dyn_sized_stack, 0
	.set _ZN7rocprim17ROCPRIM_400000_NS6detail17trampoline_kernelINS0_14default_configENS1_22reduce_config_selectorI4bboxEEZNS1_11reduce_implILb1ES3_PS5_S8_S5_14bbox_reductionEE10hipError_tPvRmT1_T2_T3_mT4_P12ihipStream_tbEUlT_E1_NS1_11comp_targetILNS1_3genE3ELNS1_11target_archE908ELNS1_3gpuE7ELNS1_3repE0EEENS1_30default_config_static_selectorELNS0_4arch9wavefront6targetE1EEEvSD_.has_recursion, 0
	.set _ZN7rocprim17ROCPRIM_400000_NS6detail17trampoline_kernelINS0_14default_configENS1_22reduce_config_selectorI4bboxEEZNS1_11reduce_implILb1ES3_PS5_S8_S5_14bbox_reductionEE10hipError_tPvRmT1_T2_T3_mT4_P12ihipStream_tbEUlT_E1_NS1_11comp_targetILNS1_3genE3ELNS1_11target_archE908ELNS1_3gpuE7ELNS1_3repE0EEENS1_30default_config_static_selectorELNS0_4arch9wavefront6targetE1EEEvSD_.has_indirect_call, 0
	.section	.AMDGPU.csdata,"",@progbits
; Kernel info:
; codeLenInByte = 0
; TotalNumSgprs: 4
; NumVgprs: 0
; ScratchSize: 0
; MemoryBound: 0
; FloatMode: 240
; IeeeMode: 1
; LDSByteSize: 0 bytes/workgroup (compile time only)
; SGPRBlocks: 0
; VGPRBlocks: 0
; NumSGPRsForWavesPerEU: 4
; NumVGPRsForWavesPerEU: 1
; Occupancy: 10
; WaveLimiterHint : 0
; COMPUTE_PGM_RSRC2:SCRATCH_EN: 0
; COMPUTE_PGM_RSRC2:USER_SGPR: 6
; COMPUTE_PGM_RSRC2:TRAP_HANDLER: 0
; COMPUTE_PGM_RSRC2:TGID_X_EN: 1
; COMPUTE_PGM_RSRC2:TGID_Y_EN: 0
; COMPUTE_PGM_RSRC2:TGID_Z_EN: 0
; COMPUTE_PGM_RSRC2:TIDIG_COMP_CNT: 0
	.section	.text._ZN7rocprim17ROCPRIM_400000_NS6detail17trampoline_kernelINS0_14default_configENS1_22reduce_config_selectorI4bboxEEZNS1_11reduce_implILb1ES3_PS5_S8_S5_14bbox_reductionEE10hipError_tPvRmT1_T2_T3_mT4_P12ihipStream_tbEUlT_E1_NS1_11comp_targetILNS1_3genE2ELNS1_11target_archE906ELNS1_3gpuE6ELNS1_3repE0EEENS1_30default_config_static_selectorELNS0_4arch9wavefront6targetE1EEEvSD_,"axG",@progbits,_ZN7rocprim17ROCPRIM_400000_NS6detail17trampoline_kernelINS0_14default_configENS1_22reduce_config_selectorI4bboxEEZNS1_11reduce_implILb1ES3_PS5_S8_S5_14bbox_reductionEE10hipError_tPvRmT1_T2_T3_mT4_P12ihipStream_tbEUlT_E1_NS1_11comp_targetILNS1_3genE2ELNS1_11target_archE906ELNS1_3gpuE6ELNS1_3repE0EEENS1_30default_config_static_selectorELNS0_4arch9wavefront6targetE1EEEvSD_,comdat
	.protected	_ZN7rocprim17ROCPRIM_400000_NS6detail17trampoline_kernelINS0_14default_configENS1_22reduce_config_selectorI4bboxEEZNS1_11reduce_implILb1ES3_PS5_S8_S5_14bbox_reductionEE10hipError_tPvRmT1_T2_T3_mT4_P12ihipStream_tbEUlT_E1_NS1_11comp_targetILNS1_3genE2ELNS1_11target_archE906ELNS1_3gpuE6ELNS1_3repE0EEENS1_30default_config_static_selectorELNS0_4arch9wavefront6targetE1EEEvSD_ ; -- Begin function _ZN7rocprim17ROCPRIM_400000_NS6detail17trampoline_kernelINS0_14default_configENS1_22reduce_config_selectorI4bboxEEZNS1_11reduce_implILb1ES3_PS5_S8_S5_14bbox_reductionEE10hipError_tPvRmT1_T2_T3_mT4_P12ihipStream_tbEUlT_E1_NS1_11comp_targetILNS1_3genE2ELNS1_11target_archE906ELNS1_3gpuE6ELNS1_3repE0EEENS1_30default_config_static_selectorELNS0_4arch9wavefront6targetE1EEEvSD_
	.globl	_ZN7rocprim17ROCPRIM_400000_NS6detail17trampoline_kernelINS0_14default_configENS1_22reduce_config_selectorI4bboxEEZNS1_11reduce_implILb1ES3_PS5_S8_S5_14bbox_reductionEE10hipError_tPvRmT1_T2_T3_mT4_P12ihipStream_tbEUlT_E1_NS1_11comp_targetILNS1_3genE2ELNS1_11target_archE906ELNS1_3gpuE6ELNS1_3repE0EEENS1_30default_config_static_selectorELNS0_4arch9wavefront6targetE1EEEvSD_
	.p2align	8
	.type	_ZN7rocprim17ROCPRIM_400000_NS6detail17trampoline_kernelINS0_14default_configENS1_22reduce_config_selectorI4bboxEEZNS1_11reduce_implILb1ES3_PS5_S8_S5_14bbox_reductionEE10hipError_tPvRmT1_T2_T3_mT4_P12ihipStream_tbEUlT_E1_NS1_11comp_targetILNS1_3genE2ELNS1_11target_archE906ELNS1_3gpuE6ELNS1_3repE0EEENS1_30default_config_static_selectorELNS0_4arch9wavefront6targetE1EEEvSD_,@function
_ZN7rocprim17ROCPRIM_400000_NS6detail17trampoline_kernelINS0_14default_configENS1_22reduce_config_selectorI4bboxEEZNS1_11reduce_implILb1ES3_PS5_S8_S5_14bbox_reductionEE10hipError_tPvRmT1_T2_T3_mT4_P12ihipStream_tbEUlT_E1_NS1_11comp_targetILNS1_3genE2ELNS1_11target_archE906ELNS1_3gpuE6ELNS1_3repE0EEENS1_30default_config_static_selectorELNS0_4arch9wavefront6targetE1EEEvSD_: ; @_ZN7rocprim17ROCPRIM_400000_NS6detail17trampoline_kernelINS0_14default_configENS1_22reduce_config_selectorI4bboxEEZNS1_11reduce_implILb1ES3_PS5_S8_S5_14bbox_reductionEE10hipError_tPvRmT1_T2_T3_mT4_P12ihipStream_tbEUlT_E1_NS1_11comp_targetILNS1_3genE2ELNS1_11target_archE906ELNS1_3gpuE6ELNS1_3repE0EEENS1_30default_config_static_selectorELNS0_4arch9wavefront6targetE1EEEvSD_
; %bb.0:
	s_load_dword s30, s[4:5], 0x4
	s_load_dwordx4 s[20:23], s[4:5], 0x8
	s_load_dwordx4 s[16:19], s[4:5], 0x20
	s_waitcnt lgkmcnt(0)
	s_cmp_lt_i32 s30, 4
	s_cbranch_scc1 .LBB15_9
; %bb.1:
	s_cmp_gt_i32 s30, 7
	s_cbranch_scc0 .LBB15_10
; %bb.2:
	s_cmp_eq_u32 s30, 8
	s_mov_b64 s[24:25], 0
	s_cbranch_scc0 .LBB15_11
; %bb.3:
	s_mov_b32 s7, 0
	s_lshl_b32 s0, s6, 10
	s_mov_b32 s1, s7
	s_lshr_b64 s[2:3], s[22:23], 10
	s_lshl_b64 s[8:9], s[0:1], 4
	s_add_u32 s26, s20, s8
	s_addc_u32 s27, s21, s9
	s_cmp_lg_u64 s[2:3], s[6:7]
	s_cbranch_scc0 .LBB15_20
; %bb.4:
	v_lshlrev_b32_e32 v9, 4, v0
	global_load_dwordx4 v[1:4], v9, s[26:27]
	global_load_dwordx4 v[5:8], v9, s[26:27] offset:2048
	v_mov_b32_e32 v10, s27
	v_add_co_u32_e32 v23, vcc, s26, v9
	v_addc_co_u32_e32 v25, vcc, 0, v10, vcc
	v_add_co_u32_e32 v17, vcc, 0x1000, v23
	v_addc_co_u32_e32 v18, vcc, 0, v25, vcc
	global_load_dwordx4 v[9:12], v[17:18], off
	global_load_dwordx4 v[13:16], v[17:18], off offset:2048
	v_add_co_u32_e32 v21, vcc, 0x2000, v23
	v_addc_co_u32_e32 v22, vcc, 0, v25, vcc
	global_load_dwordx4 v[17:20], v[21:22], off
	v_add_co_u32_e32 v29, vcc, 0x3000, v23
	global_load_dwordx4 v[21:24], v[21:22], off offset:2048
	v_addc_co_u32_e32 v30, vcc, 0, v25, vcc
	s_waitcnt vmcnt(4)
	v_cmp_lt_f32_e32 vcc, v5, v1
	v_cndmask_b32_e32 v31, v1, v5, vcc
	v_cmp_lt_f32_e32 vcc, v6, v2
	v_cndmask_b32_e32 v6, v2, v6, vcc
	v_cmp_lt_f32_e32 vcc, v3, v7
	v_cndmask_b32_e32 v7, v3, v7, vcc
	v_cmp_lt_f32_e32 vcc, v4, v8
	v_cndmask_b32_e32 v8, v4, v8, vcc
	global_load_dwordx4 v[1:4], v[29:30], off
	global_load_dwordx4 v[25:28], v[29:30], off offset:2048
	s_waitcnt vmcnt(5)
	v_cmp_lt_f32_e32 vcc, v9, v31
	v_cndmask_b32_e32 v9, v31, v9, vcc
	v_cmp_lt_f32_e32 vcc, v10, v6
	v_cndmask_b32_e32 v6, v6, v10, vcc
	v_cmp_lt_f32_e32 vcc, v7, v11
	v_cndmask_b32_e32 v7, v7, v11, vcc
	v_cmp_lt_f32_e32 vcc, v8, v12
	v_cndmask_b32_e32 v8, v8, v12, vcc
	s_waitcnt vmcnt(4)
	v_cmp_lt_f32_e32 vcc, v13, v9
	v_cndmask_b32_e32 v9, v9, v13, vcc
	v_cmp_lt_f32_e32 vcc, v14, v6
	v_cndmask_b32_e32 v6, v6, v14, vcc
	v_cmp_lt_f32_e32 vcc, v7, v15
	v_cndmask_b32_e32 v7, v7, v15, vcc
	v_cmp_lt_f32_e32 vcc, v8, v16
	v_cndmask_b32_e32 v8, v8, v16, vcc
	;; [unrolled: 9-line block ×4, first 2 shown]
	v_mbcnt_lo_u32_b32 v5, -1, 0
	v_mbcnt_hi_u32_b32 v5, -1, v5
	s_waitcnt vmcnt(1)
	v_cmp_lt_f32_e32 vcc, v1, v9
	v_cndmask_b32_e32 v1, v9, v1, vcc
	v_cmp_lt_f32_e32 vcc, v2, v6
	v_cndmask_b32_e32 v2, v6, v2, vcc
	;; [unrolled: 2-line block ×4, first 2 shown]
	s_waitcnt vmcnt(0)
	v_cmp_lt_f32_e32 vcc, v25, v1
	v_cndmask_b32_e32 v1, v1, v25, vcc
	v_cmp_lt_f32_e32 vcc, v26, v2
	v_cndmask_b32_e32 v2, v2, v26, vcc
	;; [unrolled: 2-line block ×3, first 2 shown]
	v_cmp_lt_f32_e32 vcc, v4, v28
	v_mov_b32_dpp v6, v1 quad_perm:[1,0,3,2] row_mask:0xf bank_mask:0xf bound_ctrl:1
	v_cndmask_b32_e32 v4, v4, v28, vcc
	v_mov_b32_dpp v7, v2 quad_perm:[1,0,3,2] row_mask:0xf bank_mask:0xf bound_ctrl:1
	v_cmp_lt_f32_e32 vcc, v1, v6
	v_mov_b32_dpp v8, v3 quad_perm:[1,0,3,2] row_mask:0xf bank_mask:0xf bound_ctrl:1
	v_cndmask_b32_e32 v1, v6, v1, vcc
	v_cmp_lt_f32_e32 vcc, v2, v7
	v_mov_b32_dpp v9, v4 quad_perm:[1,0,3,2] row_mask:0xf bank_mask:0xf bound_ctrl:1
	v_cndmask_b32_e32 v2, v7, v2, vcc
	v_cmp_gt_f32_e32 vcc, v3, v8
	v_cndmask_b32_e32 v3, v8, v3, vcc
	v_cmp_gt_f32_e32 vcc, v4, v9
	v_mov_b32_dpp v6, v1 quad_perm:[2,3,0,1] row_mask:0xf bank_mask:0xf bound_ctrl:1
	v_cndmask_b32_e32 v4, v9, v4, vcc
	v_mov_b32_dpp v7, v2 quad_perm:[2,3,0,1] row_mask:0xf bank_mask:0xf bound_ctrl:1
	v_cmp_lt_f32_e32 vcc, v1, v6
	v_mov_b32_dpp v8, v3 quad_perm:[2,3,0,1] row_mask:0xf bank_mask:0xf bound_ctrl:1
	v_cndmask_b32_e32 v1, v6, v1, vcc
	v_cmp_lt_f32_e32 vcc, v2, v7
	v_mov_b32_dpp v9, v4 quad_perm:[2,3,0,1] row_mask:0xf bank_mask:0xf bound_ctrl:1
	v_cndmask_b32_e32 v2, v7, v2, vcc
	v_cmp_gt_f32_e32 vcc, v3, v8
	v_cndmask_b32_e32 v3, v8, v3, vcc
	v_cmp_gt_f32_e32 vcc, v4, v9
	v_mov_b32_dpp v6, v1 row_ror:4 row_mask:0xf bank_mask:0xf bound_ctrl:1
	v_cndmask_b32_e32 v4, v9, v4, vcc
	v_mov_b32_dpp v7, v2 row_ror:4 row_mask:0xf bank_mask:0xf bound_ctrl:1
	v_cmp_lt_f32_e32 vcc, v1, v6
	v_mov_b32_dpp v8, v3 row_ror:4 row_mask:0xf bank_mask:0xf bound_ctrl:1
	v_cndmask_b32_e32 v1, v6, v1, vcc
	v_cmp_lt_f32_e32 vcc, v2, v7
	v_mov_b32_dpp v9, v4 row_ror:4 row_mask:0xf bank_mask:0xf bound_ctrl:1
	v_cndmask_b32_e32 v2, v7, v2, vcc
	v_cmp_gt_f32_e32 vcc, v3, v8
	v_cndmask_b32_e32 v3, v8, v3, vcc
	v_cmp_gt_f32_e32 vcc, v4, v9
	v_mov_b32_dpp v6, v1 row_ror:8 row_mask:0xf bank_mask:0xf bound_ctrl:1
	v_cndmask_b32_e32 v4, v9, v4, vcc
	v_mov_b32_dpp v7, v2 row_ror:8 row_mask:0xf bank_mask:0xf bound_ctrl:1
	v_cmp_lt_f32_e32 vcc, v1, v6
	v_mov_b32_dpp v8, v3 row_ror:8 row_mask:0xf bank_mask:0xf bound_ctrl:1
	v_cndmask_b32_e32 v1, v6, v1, vcc
	v_cmp_lt_f32_e32 vcc, v2, v7
	v_mov_b32_dpp v9, v4 row_ror:8 row_mask:0xf bank_mask:0xf bound_ctrl:1
	v_cndmask_b32_e32 v2, v7, v2, vcc
	v_cmp_gt_f32_e32 vcc, v3, v8
	v_cndmask_b32_e32 v3, v8, v3, vcc
	v_cmp_gt_f32_e32 vcc, v4, v9
	v_mov_b32_dpp v6, v1 row_bcast:15 row_mask:0xf bank_mask:0xf bound_ctrl:1
	v_cndmask_b32_e32 v4, v9, v4, vcc
	v_mov_b32_dpp v7, v2 row_bcast:15 row_mask:0xf bank_mask:0xf bound_ctrl:1
	v_cmp_lt_f32_e32 vcc, v1, v6
	v_mov_b32_dpp v8, v3 row_bcast:15 row_mask:0xf bank_mask:0xf bound_ctrl:1
	v_cndmask_b32_e32 v1, v6, v1, vcc
	v_cmp_lt_f32_e32 vcc, v2, v7
	v_mov_b32_dpp v9, v4 row_bcast:15 row_mask:0xf bank_mask:0xf bound_ctrl:1
	v_cndmask_b32_e32 v2, v7, v2, vcc
	v_cmp_gt_f32_e32 vcc, v3, v8
	v_cndmask_b32_e32 v3, v8, v3, vcc
	v_cmp_gt_f32_e32 vcc, v4, v9
	v_mov_b32_dpp v6, v1 row_bcast:31 row_mask:0xf bank_mask:0xf bound_ctrl:1
	v_cndmask_b32_e32 v4, v9, v4, vcc
	v_mov_b32_dpp v7, v2 row_bcast:31 row_mask:0xf bank_mask:0xf bound_ctrl:1
	v_cmp_lt_f32_e32 vcc, v1, v6
	v_mov_b32_dpp v8, v3 row_bcast:31 row_mask:0xf bank_mask:0xf bound_ctrl:1
	v_cndmask_b32_e32 v1, v6, v1, vcc
	v_cmp_lt_f32_e32 vcc, v2, v7
	v_mov_b32_dpp v9, v4 row_bcast:31 row_mask:0xf bank_mask:0xf bound_ctrl:1
	v_cndmask_b32_e32 v2, v7, v2, vcc
	v_cmp_gt_f32_e32 vcc, v3, v8
	v_cndmask_b32_e32 v3, v8, v3, vcc
	v_cmp_gt_f32_e32 vcc, v4, v9
	v_lshlrev_b32_e32 v6, 2, v5
	v_cndmask_b32_e32 v4, v9, v4, vcc
	v_or_b32_e32 v7, 0xfc, v6
	ds_bpermute_b32 v1, v7, v1
	ds_bpermute_b32 v2, v7, v2
	;; [unrolled: 1-line block ×4, first 2 shown]
	v_cmp_eq_u32_e32 vcc, 0, v5
	s_and_saveexec_b64 s[2:3], vcc
	s_cbranch_execz .LBB15_6
; %bb.5:
	v_lshrrev_b32_e32 v7, 2, v0
	v_and_b32_e32 v7, 16, v7
	s_waitcnt lgkmcnt(0)
	ds_write2_b64 v7, v[1:2], v[3:4] offset0:16 offset1:17
.LBB15_6:
	s_or_b64 exec, exec, s[2:3]
	v_cmp_gt_u32_e32 vcc, 64, v0
	s_waitcnt lgkmcnt(0)
	s_barrier
	s_and_saveexec_b64 s[2:3], vcc
	s_cbranch_execz .LBB15_8
; %bb.7:
	v_and_b32_e32 v1, 1, v5
	v_lshlrev_b32_e32 v1, 4, v1
	ds_read2_b64 v[1:4], v1 offset0:16 offset1:17
	v_or_b32_e32 v5, 4, v6
	s_waitcnt lgkmcnt(0)
	ds_bpermute_b32 v6, v5, v1
	ds_bpermute_b32 v7, v5, v2
	;; [unrolled: 1-line block ×4, first 2 shown]
	s_waitcnt lgkmcnt(3)
	v_cmp_gt_f32_e32 vcc, v1, v6
	v_cndmask_b32_e32 v1, v1, v6, vcc
	s_waitcnt lgkmcnt(2)
	v_cmp_gt_f32_e32 vcc, v2, v7
	v_cndmask_b32_e32 v2, v2, v7, vcc
	s_waitcnt lgkmcnt(1)
	v_cmp_lt_f32_e32 vcc, v3, v8
	v_cndmask_b32_e32 v3, v3, v8, vcc
	s_waitcnt lgkmcnt(0)
	v_cmp_lt_f32_e32 vcc, v4, v5
	v_cndmask_b32_e32 v4, v4, v5, vcc
.LBB15_8:
	s_or_b64 exec, exec, s[2:3]
	s_branch .LBB15_63
.LBB15_9:
	s_mov_b64 s[8:9], 0
                                        ; implicit-def: $vgpr8
	s_cbranch_execnz .LBB15_105
	s_branch .LBB15_152
.LBB15_10:
	s_mov_b64 s[24:25], -1
.LBB15_11:
	s_mov_b64 s[8:9], 0
                                        ; implicit-def: $vgpr8
	s_and_b64 vcc, exec, s[24:25]
	s_cbranch_vccz .LBB15_68
.LBB15_12:
	s_cmp_eq_u32 s30, 4
	s_cbranch_scc0 .LBB15_19
; %bb.13:
	s_mov_b32 s7, 0
	s_lshl_b32 s0, s6, 9
	s_mov_b32 s1, s7
	s_lshr_b64 s[2:3], s[22:23], 9
	s_lshl_b64 s[10:11], s[0:1], 4
	s_add_u32 s10, s20, s10
	s_addc_u32 s11, s21, s11
	s_cmp_lg_u64 s[2:3], s[6:7]
	s_cbranch_scc0 .LBB15_69
; %bb.14:
	v_lshlrev_b32_e32 v5, 4, v0
	global_load_dwordx4 v[1:4], v5, s[10:11]
	s_waitcnt lgkmcnt(0)
	global_load_dwordx4 v[6:9], v5, s[10:11] offset:2048
	v_mov_b32_e32 v10, s11
	v_add_co_u32_e32 v5, vcc, s10, v5
	v_addc_co_u32_e32 v10, vcc, 0, v10, vcc
	v_add_co_u32_e32 v18, vcc, 0x1000, v5
	v_addc_co_u32_e32 v19, vcc, 0, v10, vcc
	global_load_dwordx4 v[10:13], v[18:19], off
	global_load_dwordx4 v[14:17], v[18:19], off offset:2048
	v_mbcnt_lo_u32_b32 v5, -1, 0
	v_mbcnt_hi_u32_b32 v5, -1, v5
	s_waitcnt vmcnt(2)
	v_cmp_lt_f32_e32 vcc, v6, v1
	v_cndmask_b32_e32 v1, v1, v6, vcc
	v_cmp_lt_f32_e32 vcc, v7, v2
	v_cndmask_b32_e32 v2, v2, v7, vcc
	;; [unrolled: 2-line block ×4, first 2 shown]
	s_waitcnt vmcnt(1)
	v_cmp_lt_f32_e32 vcc, v10, v1
	v_cndmask_b32_e32 v1, v1, v10, vcc
	v_cmp_lt_f32_e32 vcc, v11, v2
	v_cndmask_b32_e32 v2, v2, v11, vcc
	;; [unrolled: 2-line block ×4, first 2 shown]
	s_waitcnt vmcnt(0)
	v_cmp_lt_f32_e32 vcc, v14, v1
	v_cndmask_b32_e32 v1, v1, v14, vcc
	v_cmp_lt_f32_e32 vcc, v15, v2
	v_cndmask_b32_e32 v2, v2, v15, vcc
	v_cmp_lt_f32_e32 vcc, v3, v16
	v_cndmask_b32_e32 v3, v3, v16, vcc
	v_cmp_lt_f32_e32 vcc, v4, v17
	v_mov_b32_dpp v6, v1 quad_perm:[1,0,3,2] row_mask:0xf bank_mask:0xf bound_ctrl:1
	v_cndmask_b32_e32 v4, v4, v17, vcc
	v_mov_b32_dpp v7, v2 quad_perm:[1,0,3,2] row_mask:0xf bank_mask:0xf bound_ctrl:1
	v_cmp_lt_f32_e32 vcc, v1, v6
	v_mov_b32_dpp v8, v3 quad_perm:[1,0,3,2] row_mask:0xf bank_mask:0xf bound_ctrl:1
	v_cndmask_b32_e32 v1, v6, v1, vcc
	v_cmp_lt_f32_e32 vcc, v2, v7
	v_mov_b32_dpp v9, v4 quad_perm:[1,0,3,2] row_mask:0xf bank_mask:0xf bound_ctrl:1
	v_cndmask_b32_e32 v2, v7, v2, vcc
	v_cmp_gt_f32_e32 vcc, v3, v8
	v_cndmask_b32_e32 v3, v8, v3, vcc
	v_cmp_gt_f32_e32 vcc, v4, v9
	v_mov_b32_dpp v6, v1 quad_perm:[2,3,0,1] row_mask:0xf bank_mask:0xf bound_ctrl:1
	v_cndmask_b32_e32 v4, v9, v4, vcc
	v_mov_b32_dpp v7, v2 quad_perm:[2,3,0,1] row_mask:0xf bank_mask:0xf bound_ctrl:1
	v_cmp_lt_f32_e32 vcc, v1, v6
	v_mov_b32_dpp v8, v3 quad_perm:[2,3,0,1] row_mask:0xf bank_mask:0xf bound_ctrl:1
	v_cndmask_b32_e32 v1, v6, v1, vcc
	v_cmp_lt_f32_e32 vcc, v2, v7
	v_mov_b32_dpp v9, v4 quad_perm:[2,3,0,1] row_mask:0xf bank_mask:0xf bound_ctrl:1
	v_cndmask_b32_e32 v2, v7, v2, vcc
	v_cmp_gt_f32_e32 vcc, v3, v8
	v_cndmask_b32_e32 v3, v8, v3, vcc
	v_cmp_gt_f32_e32 vcc, v4, v9
	v_mov_b32_dpp v6, v1 row_ror:4 row_mask:0xf bank_mask:0xf bound_ctrl:1
	v_cndmask_b32_e32 v4, v9, v4, vcc
	v_mov_b32_dpp v7, v2 row_ror:4 row_mask:0xf bank_mask:0xf bound_ctrl:1
	v_cmp_lt_f32_e32 vcc, v1, v6
	v_mov_b32_dpp v8, v3 row_ror:4 row_mask:0xf bank_mask:0xf bound_ctrl:1
	v_cndmask_b32_e32 v1, v6, v1, vcc
	v_cmp_lt_f32_e32 vcc, v2, v7
	v_mov_b32_dpp v9, v4 row_ror:4 row_mask:0xf bank_mask:0xf bound_ctrl:1
	v_cndmask_b32_e32 v2, v7, v2, vcc
	v_cmp_gt_f32_e32 vcc, v3, v8
	v_cndmask_b32_e32 v3, v8, v3, vcc
	v_cmp_gt_f32_e32 vcc, v4, v9
	v_mov_b32_dpp v6, v1 row_ror:8 row_mask:0xf bank_mask:0xf bound_ctrl:1
	v_cndmask_b32_e32 v4, v9, v4, vcc
	v_mov_b32_dpp v7, v2 row_ror:8 row_mask:0xf bank_mask:0xf bound_ctrl:1
	v_cmp_lt_f32_e32 vcc, v1, v6
	v_mov_b32_dpp v8, v3 row_ror:8 row_mask:0xf bank_mask:0xf bound_ctrl:1
	v_cndmask_b32_e32 v1, v6, v1, vcc
	v_cmp_lt_f32_e32 vcc, v2, v7
	v_mov_b32_dpp v9, v4 row_ror:8 row_mask:0xf bank_mask:0xf bound_ctrl:1
	v_cndmask_b32_e32 v2, v7, v2, vcc
	v_cmp_gt_f32_e32 vcc, v3, v8
	v_cndmask_b32_e32 v3, v8, v3, vcc
	v_cmp_gt_f32_e32 vcc, v4, v9
	v_mov_b32_dpp v6, v1 row_bcast:15 row_mask:0xf bank_mask:0xf bound_ctrl:1
	v_cndmask_b32_e32 v4, v9, v4, vcc
	v_mov_b32_dpp v7, v2 row_bcast:15 row_mask:0xf bank_mask:0xf bound_ctrl:1
	v_cmp_lt_f32_e32 vcc, v1, v6
	v_mov_b32_dpp v8, v3 row_bcast:15 row_mask:0xf bank_mask:0xf bound_ctrl:1
	v_cndmask_b32_e32 v1, v6, v1, vcc
	v_cmp_lt_f32_e32 vcc, v2, v7
	v_mov_b32_dpp v9, v4 row_bcast:15 row_mask:0xf bank_mask:0xf bound_ctrl:1
	v_cndmask_b32_e32 v2, v7, v2, vcc
	v_cmp_gt_f32_e32 vcc, v3, v8
	v_cndmask_b32_e32 v3, v8, v3, vcc
	v_cmp_gt_f32_e32 vcc, v4, v9
	v_mov_b32_dpp v6, v1 row_bcast:31 row_mask:0xf bank_mask:0xf bound_ctrl:1
	v_cndmask_b32_e32 v4, v9, v4, vcc
	v_mov_b32_dpp v7, v2 row_bcast:31 row_mask:0xf bank_mask:0xf bound_ctrl:1
	v_cmp_lt_f32_e32 vcc, v1, v6
	v_mov_b32_dpp v8, v3 row_bcast:31 row_mask:0xf bank_mask:0xf bound_ctrl:1
	v_cndmask_b32_e32 v1, v6, v1, vcc
	v_cmp_lt_f32_e32 vcc, v2, v7
	v_mov_b32_dpp v9, v4 row_bcast:31 row_mask:0xf bank_mask:0xf bound_ctrl:1
	v_cndmask_b32_e32 v2, v7, v2, vcc
	v_cmp_gt_f32_e32 vcc, v3, v8
	v_cndmask_b32_e32 v3, v8, v3, vcc
	v_cmp_gt_f32_e32 vcc, v4, v9
	v_lshlrev_b32_e32 v6, 2, v5
	v_cndmask_b32_e32 v4, v9, v4, vcc
	v_or_b32_e32 v7, 0xfc, v6
	ds_bpermute_b32 v1, v7, v1
	ds_bpermute_b32 v2, v7, v2
	ds_bpermute_b32 v3, v7, v3
	ds_bpermute_b32 v4, v7, v4
	v_cmp_eq_u32_e32 vcc, 0, v5
	s_and_saveexec_b64 s[2:3], vcc
	s_cbranch_execz .LBB15_16
; %bb.15:
	v_lshrrev_b32_e32 v7, 2, v0
	v_and_b32_e32 v7, 16, v7
	s_waitcnt lgkmcnt(0)
	ds_write2_b64 v7, v[1:2], v[3:4] offset0:12 offset1:13
.LBB15_16:
	s_or_b64 exec, exec, s[2:3]
	v_cmp_gt_u32_e32 vcc, 64, v0
	s_waitcnt lgkmcnt(0)
	s_barrier
	s_and_saveexec_b64 s[2:3], vcc
	s_cbranch_execz .LBB15_18
; %bb.17:
	v_and_b32_e32 v1, 1, v5
	v_lshlrev_b32_e32 v1, 4, v1
	ds_read2_b64 v[1:4], v1 offset0:12 offset1:13
	v_or_b32_e32 v5, 4, v6
	s_waitcnt lgkmcnt(0)
	ds_bpermute_b32 v6, v5, v1
	ds_bpermute_b32 v7, v5, v2
	;; [unrolled: 1-line block ×4, first 2 shown]
	s_waitcnt lgkmcnt(3)
	v_cmp_gt_f32_e32 vcc, v1, v6
	v_cndmask_b32_e32 v1, v1, v6, vcc
	s_waitcnt lgkmcnt(2)
	v_cmp_gt_f32_e32 vcc, v2, v7
	v_cndmask_b32_e32 v2, v2, v7, vcc
	s_waitcnt lgkmcnt(1)
	v_cmp_lt_f32_e32 vcc, v3, v8
	v_cndmask_b32_e32 v3, v3, v8, vcc
	s_waitcnt lgkmcnt(0)
	v_cmp_lt_f32_e32 vcc, v4, v5
	v_cndmask_b32_e32 v4, v4, v5, vcc
.LBB15_18:
	s_or_b64 exec, exec, s[2:3]
	s_branch .LBB15_100
.LBB15_19:
                                        ; implicit-def: $vgpr8
	s_branch .LBB15_152
.LBB15_20:
                                        ; implicit-def: $vgpr4
	s_cbranch_execz .LBB15_63
; %bb.21:
	s_sub_i32 s31, s22, s0
	v_cmp_gt_u32_e32 vcc, s31, v0
	v_mov_b32_e32 v8, 0
	v_mov_b32_e32 v4, 0
	;; [unrolled: 1-line block ×5, first 2 shown]
	s_and_saveexec_b64 s[0:1], vcc
	s_cbranch_execz .LBB15_23
; %bb.22:
	v_lshlrev_b32_e32 v1, 4, v0
	global_load_dwordx4 v[1:4], v1, s[26:27]
.LBB15_23:
	s_or_b64 exec, exec, s[0:1]
	v_or_b32_e32 v5, 0x80, v0
	v_cmp_gt_u32_e32 vcc, s31, v5
	v_mov_b32_e32 v7, 0
	v_mov_b32_e32 v6, 0
	v_mov_b32_e32 v5, 0
	s_and_saveexec_b64 s[0:1], vcc
	s_cbranch_execz .LBB15_25
; %bb.24:
	v_lshlrev_b32_e32 v5, 4, v0
	global_load_dwordx4 v[5:8], v5, s[26:27] offset:2048
.LBB15_25:
	s_or_b64 exec, exec, s[0:1]
	v_or_b32_e32 v9, 0x100, v0
	v_cmp_gt_u32_e64 s[0:1], s31, v9
	v_mov_b32_e32 v12, 0
	v_mov_b32_e32 v24, 0
	;; [unrolled: 1-line block ×5, first 2 shown]
	s_and_saveexec_b64 s[2:3], s[0:1]
	s_cbranch_execz .LBB15_27
; %bb.26:
	v_lshlrev_b32_e32 v9, 4, v9
	global_load_dwordx4 v[21:24], v9, s[26:27]
.LBB15_27:
	s_or_b64 exec, exec, s[2:3]
	v_or_b32_e32 v13, 0x180, v0
	v_cmp_gt_u32_e64 s[2:3], s31, v13
	v_mov_b32_e32 v11, 0
	v_mov_b32_e32 v10, 0
	;; [unrolled: 1-line block ×3, first 2 shown]
	s_and_saveexec_b64 s[8:9], s[2:3]
	s_cbranch_execz .LBB15_29
; %bb.28:
	v_lshlrev_b32_e32 v9, 4, v13
	global_load_dwordx4 v[9:12], v9, s[26:27]
.LBB15_29:
	s_or_b64 exec, exec, s[8:9]
	v_or_b32_e32 v13, 0x200, v0
	v_cmp_gt_u32_e64 s[8:9], s31, v13
	v_mov_b32_e32 v16, 0
	v_mov_b32_e32 v28, 0
	;; [unrolled: 1-line block ×5, first 2 shown]
	s_and_saveexec_b64 s[10:11], s[8:9]
	s_cbranch_execz .LBB15_31
; %bb.30:
	v_lshlrev_b32_e32 v13, 4, v13
	global_load_dwordx4 v[25:28], v13, s[26:27]
.LBB15_31:
	s_or_b64 exec, exec, s[10:11]
	v_or_b32_e32 v17, 0x280, v0
	v_cmp_gt_u32_e64 s[10:11], s31, v17
	v_mov_b32_e32 v15, 0
	v_mov_b32_e32 v14, 0
	;; [unrolled: 1-line block ×3, first 2 shown]
	s_and_saveexec_b64 s[12:13], s[10:11]
	s_cbranch_execz .LBB15_33
; %bb.32:
	v_lshlrev_b32_e32 v13, 4, v17
	global_load_dwordx4 v[13:16], v13, s[26:27]
.LBB15_33:
	s_or_b64 exec, exec, s[12:13]
	v_or_b32_e32 v17, 0x300, v0
	v_cmp_gt_u32_e64 s[12:13], s31, v17
	v_mov_b32_e32 v20, 0
	v_mov_b32_e32 v32, 0
	;; [unrolled: 1-line block ×5, first 2 shown]
	s_and_saveexec_b64 s[14:15], s[12:13]
	s_cbranch_execz .LBB15_35
; %bb.34:
	v_lshlrev_b32_e32 v17, 4, v17
	global_load_dwordx4 v[29:32], v17, s[26:27]
.LBB15_35:
	s_or_b64 exec, exec, s[14:15]
	v_or_b32_e32 v33, 0x380, v0
	v_cmp_gt_u32_e64 s[14:15], s31, v33
	v_mov_b32_e32 v19, 0
	v_mov_b32_e32 v18, 0
	;; [unrolled: 1-line block ×3, first 2 shown]
	s_and_saveexec_b64 s[28:29], s[14:15]
	s_cbranch_execnz .LBB15_182
; %bb.36:
	s_or_b64 exec, exec, s[28:29]
	s_and_saveexec_b64 s[26:27], vcc
	s_cbranch_execnz .LBB15_183
.LBB15_37:
	s_or_b64 exec, exec, s[26:27]
	s_and_saveexec_b64 s[26:27], s[0:1]
	s_cbranch_execnz .LBB15_184
.LBB15_38:
	s_or_b64 exec, exec, s[26:27]
	s_and_saveexec_b64 s[0:1], s[2:3]
	s_cbranch_execnz .LBB15_185
.LBB15_39:
	s_or_b64 exec, exec, s[0:1]
	s_and_saveexec_b64 s[0:1], s[8:9]
	s_cbranch_execnz .LBB15_186
.LBB15_40:
	s_or_b64 exec, exec, s[0:1]
	s_and_saveexec_b64 s[0:1], s[10:11]
	s_cbranch_execnz .LBB15_187
.LBB15_41:
	s_or_b64 exec, exec, s[0:1]
	s_and_saveexec_b64 s[0:1], s[12:13]
	s_cbranch_execnz .LBB15_188
.LBB15_42:
	s_or_b64 exec, exec, s[0:1]
	s_and_saveexec_b64 s[0:1], s[14:15]
	s_cbranch_execz .LBB15_44
.LBB15_43:
	s_waitcnt vmcnt(0)
	v_cmp_lt_f32_e32 vcc, v17, v1
	v_cndmask_b32_e32 v1, v1, v17, vcc
	v_cmp_lt_f32_e32 vcc, v18, v2
	v_cndmask_b32_e32 v2, v2, v18, vcc
	;; [unrolled: 2-line block ×4, first 2 shown]
.LBB15_44:
	s_or_b64 exec, exec, s[0:1]
	s_waitcnt vmcnt(0)
	v_mbcnt_lo_u32_b32 v5, -1, 0
	v_mbcnt_hi_u32_b32 v5, -1, v5
	v_and_b32_e32 v6, 63, v5
	v_cmp_ne_u32_e32 vcc, 63, v6
	v_addc_co_u32_e32 v7, vcc, 0, v5, vcc
	v_lshlrev_b32_e32 v7, 2, v7
	ds_bpermute_b32 v11, v7, v1
	ds_bpermute_b32 v10, v7, v2
	;; [unrolled: 1-line block ×4, first 2 shown]
	s_min_u32 s2, s31, 0x80
	v_and_b32_e32 v7, 64, v0
	v_sub_u32_e64 v7, s2, v7 clamp
	v_add_u32_e32 v12, 1, v6
	v_cmp_lt_u32_e32 vcc, v12, v7
	s_and_saveexec_b64 s[0:1], vcc
	s_xor_b64 s[0:1], exec, s[0:1]
	s_cbranch_execz .LBB15_46
; %bb.45:
	s_waitcnt lgkmcnt(3)
	v_cmp_gt_f32_e32 vcc, v1, v11
	v_cndmask_b32_e32 v1, v1, v11, vcc
	s_waitcnt lgkmcnt(2)
	v_cmp_gt_f32_e32 vcc, v2, v10
	v_cndmask_b32_e32 v2, v2, v10, vcc
	s_waitcnt lgkmcnt(1)
	v_cmp_lt_f32_e32 vcc, v3, v9
	v_cndmask_b32_e32 v3, v3, v9, vcc
	s_waitcnt lgkmcnt(0)
	v_cmp_lt_f32_e32 vcc, v4, v8
	v_cndmask_b32_e32 v4, v4, v8, vcc
.LBB15_46:
	s_or_b64 exec, exec, s[0:1]
	v_cmp_gt_u32_e32 vcc, 62, v6
	s_waitcnt lgkmcnt(0)
	v_cndmask_b32_e64 v8, 0, 2, vcc
	v_add_lshl_u32 v8, v8, v5, 2
	ds_bpermute_b32 v11, v8, v1
	ds_bpermute_b32 v10, v8, v2
	ds_bpermute_b32 v9, v8, v3
	ds_bpermute_b32 v8, v8, v4
	v_add_u32_e32 v12, 2, v6
	v_cmp_lt_u32_e32 vcc, v12, v7
	s_and_saveexec_b64 s[0:1], vcc
	s_cbranch_execz .LBB15_48
; %bb.47:
	s_waitcnt lgkmcnt(3)
	v_cmp_gt_f32_e32 vcc, v1, v11
	v_cndmask_b32_e32 v1, v1, v11, vcc
	s_waitcnt lgkmcnt(2)
	v_cmp_gt_f32_e32 vcc, v2, v10
	v_cndmask_b32_e32 v2, v2, v10, vcc
	s_waitcnt lgkmcnt(1)
	v_cmp_lt_f32_e32 vcc, v3, v9
	v_cndmask_b32_e32 v3, v3, v9, vcc
	s_waitcnt lgkmcnt(0)
	v_cmp_lt_f32_e32 vcc, v4, v8
	v_cndmask_b32_e32 v4, v4, v8, vcc
.LBB15_48:
	s_or_b64 exec, exec, s[0:1]
	v_cmp_gt_u32_e32 vcc, 60, v6
	s_waitcnt lgkmcnt(0)
	v_cndmask_b32_e64 v8, 0, 4, vcc
	v_add_lshl_u32 v8, v8, v5, 2
	ds_bpermute_b32 v11, v8, v1
	ds_bpermute_b32 v10, v8, v2
	ds_bpermute_b32 v9, v8, v3
	ds_bpermute_b32 v8, v8, v4
	v_add_u32_e32 v12, 4, v6
	v_cmp_lt_u32_e32 vcc, v12, v7
	s_and_saveexec_b64 s[0:1], vcc
	;; [unrolled: 27-line block ×4, first 2 shown]
	s_cbranch_execz .LBB15_54
; %bb.53:
	s_waitcnt lgkmcnt(3)
	v_cmp_gt_f32_e32 vcc, v1, v11
	v_cndmask_b32_e32 v1, v1, v11, vcc
	s_waitcnt lgkmcnt(2)
	v_cmp_gt_f32_e32 vcc, v2, v10
	v_cndmask_b32_e32 v2, v2, v10, vcc
	s_waitcnt lgkmcnt(1)
	v_cmp_lt_f32_e32 vcc, v3, v9
	v_cndmask_b32_e32 v3, v3, v9, vcc
	s_waitcnt lgkmcnt(0)
	v_cmp_lt_f32_e32 vcc, v4, v8
	v_cndmask_b32_e32 v4, v4, v8, vcc
.LBB15_54:
	s_or_b64 exec, exec, s[0:1]
	s_waitcnt lgkmcnt(0)
	v_lshlrev_b32_e32 v8, 2, v5
	v_or_b32_e32 v9, 0x80, v8
	ds_bpermute_b32 v12, v9, v1
	ds_bpermute_b32 v11, v9, v2
	;; [unrolled: 1-line block ×4, first 2 shown]
	v_add_u32_e32 v6, 32, v6
	v_cmp_lt_u32_e32 vcc, v6, v7
	s_and_saveexec_b64 s[0:1], vcc
	s_cbranch_execz .LBB15_56
; %bb.55:
	s_waitcnt lgkmcnt(3)
	v_cmp_gt_f32_e32 vcc, v1, v12
	v_cndmask_b32_e32 v1, v1, v12, vcc
	s_waitcnt lgkmcnt(2)
	v_cmp_gt_f32_e32 vcc, v2, v11
	v_cndmask_b32_e32 v2, v2, v11, vcc
	s_waitcnt lgkmcnt(1)
	v_cmp_lt_f32_e32 vcc, v3, v10
	v_cndmask_b32_e32 v3, v3, v10, vcc
	s_waitcnt lgkmcnt(0)
	v_cmp_lt_f32_e32 vcc, v4, v9
	v_cndmask_b32_e32 v4, v4, v9, vcc
.LBB15_56:
	s_or_b64 exec, exec, s[0:1]
	v_cmp_eq_u32_e32 vcc, 0, v5
	s_and_saveexec_b64 s[0:1], vcc
; %bb.57:
	v_lshrrev_b32_e32 v6, 2, v0
	v_and_b32_e32 v6, 16, v6
	ds_write2_b64 v6, v[1:2], v[3:4] offset1:1
; %bb.58:
	s_or_b64 exec, exec, s[0:1]
	v_cmp_gt_u32_e32 vcc, 2, v0
	s_waitcnt lgkmcnt(0)
	s_barrier
	s_and_saveexec_b64 s[0:1], vcc
	s_cbranch_execz .LBB15_62
; %bb.59:
	v_lshlrev_b32_e32 v1, 4, v5
	ds_read2_b64 v[1:4], v1 offset1:1
	v_or_b32_e32 v6, 4, v8
	s_add_i32 s2, s2, 63
	v_and_b32_e32 v5, 1, v5
	s_lshr_b32 s2, s2, 6
	s_waitcnt lgkmcnt(0)
	ds_bpermute_b32 v9, v6, v1
	ds_bpermute_b32 v8, v6, v2
	;; [unrolled: 1-line block ×4, first 2 shown]
	v_add_u32_e32 v5, 1, v5
	v_cmp_gt_u32_e32 vcc, s2, v5
	s_and_saveexec_b64 s[2:3], vcc
	s_cbranch_execz .LBB15_61
; %bb.60:
	s_waitcnt lgkmcnt(3)
	v_cmp_gt_f32_e32 vcc, v1, v9
	v_cndmask_b32_e32 v1, v1, v9, vcc
	s_waitcnt lgkmcnt(2)
	v_cmp_gt_f32_e32 vcc, v2, v8
	v_cndmask_b32_e32 v2, v2, v8, vcc
	s_waitcnt lgkmcnt(1)
	v_cmp_lt_f32_e32 vcc, v3, v7
	v_cndmask_b32_e32 v3, v3, v7, vcc
	s_waitcnt lgkmcnt(0)
	v_cmp_lt_f32_e32 vcc, v4, v6
	v_cndmask_b32_e32 v4, v4, v6, vcc
.LBB15_61:
	s_or_b64 exec, exec, s[2:3]
.LBB15_62:
	s_or_b64 exec, exec, s[0:1]
.LBB15_63:
	v_cmp_eq_u32_e32 vcc, 0, v0
	s_mov_b64 s[8:9], 0
                                        ; implicit-def: $vgpr8
	s_and_saveexec_b64 s[0:1], vcc
	s_xor_b64 s[0:1], exec, s[0:1]
	s_cbranch_execz .LBB15_67
; %bb.64:
	s_cmp_eq_u64 s[22:23], 0
	s_waitcnt lgkmcnt(2)
	v_mov_b32_e32 v8, s19
	s_waitcnt lgkmcnt(1)
	v_mov_b32_e32 v7, s18
	;; [unrolled: 2-line block ×3, first 2 shown]
	v_mov_b32_e32 v5, s16
	s_cbranch_scc1 .LBB15_66
; %bb.65:
	v_mov_b32_e32 v5, s16
	v_cmp_gt_f32_e32 vcc, s16, v1
	v_cndmask_b32_e32 v5, v5, v1, vcc
	v_mov_b32_e32 v1, s17
	v_cmp_gt_f32_e32 vcc, s17, v2
	v_cndmask_b32_e32 v6, v1, v2, vcc
	v_mov_b32_e32 v1, s18
	v_cmp_lt_f32_e32 vcc, s18, v3
	v_cndmask_b32_e32 v7, v1, v3, vcc
	v_mov_b32_e32 v1, s19
	v_cmp_lt_f32_e32 vcc, s19, v4
	v_cndmask_b32_e32 v8, v1, v4, vcc
.LBB15_66:
	s_mov_b64 s[8:9], exec
.LBB15_67:
	s_or_b64 exec, exec, s[0:1]
	s_and_b64 vcc, exec, s[24:25]
	s_cbranch_vccnz .LBB15_12
.LBB15_68:
	s_branch .LBB15_152
.LBB15_69:
                                        ; implicit-def: $vgpr4
	s_cbranch_execz .LBB15_100
; %bb.70:
	s_sub_i32 s14, s22, s0
	v_cmp_gt_u32_e32 vcc, s14, v0
	s_waitcnt lgkmcnt(2)
	v_mov_b32_e32 v8, 0
	v_mov_b32_e32 v4, 0
	;; [unrolled: 1-line block ×5, first 2 shown]
	s_and_saveexec_b64 s[0:1], vcc
	s_cbranch_execz .LBB15_72
; %bb.71:
	v_lshlrev_b32_e32 v1, 4, v0
	global_load_dwordx4 v[1:4], v1, s[10:11]
.LBB15_72:
	s_or_b64 exec, exec, s[0:1]
	v_or_b32_e32 v5, 0x80, v0
	v_cmp_gt_u32_e32 vcc, s14, v5
	s_waitcnt lgkmcnt(1)
	v_mov_b32_e32 v7, 0
	s_waitcnt lgkmcnt(0)
	v_mov_b32_e32 v6, 0
	v_mov_b32_e32 v5, 0
	s_and_saveexec_b64 s[0:1], vcc
	s_cbranch_execz .LBB15_74
; %bb.73:
	v_lshlrev_b32_e32 v5, 4, v0
	global_load_dwordx4 v[5:8], v5, s[10:11] offset:2048
.LBB15_74:
	s_or_b64 exec, exec, s[0:1]
	v_or_b32_e32 v9, 0x100, v0
	v_cmp_gt_u32_e64 s[0:1], s14, v9
	v_mov_b32_e32 v12, 0
	v_mov_b32_e32 v16, 0
	;; [unrolled: 1-line block ×5, first 2 shown]
	s_and_saveexec_b64 s[2:3], s[0:1]
	s_cbranch_execz .LBB15_76
; %bb.75:
	v_lshlrev_b32_e32 v9, 4, v9
	global_load_dwordx4 v[13:16], v9, s[10:11]
.LBB15_76:
	s_or_b64 exec, exec, s[2:3]
	v_or_b32_e32 v17, 0x180, v0
	v_cmp_gt_u32_e64 s[2:3], s14, v17
	v_mov_b32_e32 v11, 0
	v_mov_b32_e32 v10, 0
	;; [unrolled: 1-line block ×3, first 2 shown]
	s_and_saveexec_b64 s[12:13], s[2:3]
	s_cbranch_execnz .LBB15_189
; %bb.77:
	s_or_b64 exec, exec, s[12:13]
	s_and_saveexec_b64 s[10:11], vcc
	s_cbranch_execnz .LBB15_190
.LBB15_78:
	s_or_b64 exec, exec, s[10:11]
	s_and_saveexec_b64 s[10:11], s[0:1]
	s_cbranch_execnz .LBB15_191
.LBB15_79:
	s_or_b64 exec, exec, s[10:11]
	s_and_saveexec_b64 s[0:1], s[2:3]
	s_cbranch_execz .LBB15_81
.LBB15_80:
	s_waitcnt vmcnt(0)
	v_cmp_lt_f32_e32 vcc, v9, v1
	v_cndmask_b32_e32 v1, v1, v9, vcc
	v_cmp_lt_f32_e32 vcc, v10, v2
	v_cndmask_b32_e32 v2, v2, v10, vcc
	;; [unrolled: 2-line block ×4, first 2 shown]
.LBB15_81:
	s_or_b64 exec, exec, s[0:1]
	s_waitcnt vmcnt(0)
	v_mbcnt_lo_u32_b32 v5, -1, 0
	v_mbcnt_hi_u32_b32 v5, -1, v5
	v_and_b32_e32 v6, 63, v5
	v_cmp_ne_u32_e32 vcc, 63, v6
	v_addc_co_u32_e32 v7, vcc, 0, v5, vcc
	v_lshlrev_b32_e32 v7, 2, v7
	ds_bpermute_b32 v11, v7, v1
	ds_bpermute_b32 v10, v7, v2
	;; [unrolled: 1-line block ×4, first 2 shown]
	s_min_u32 s2, s14, 0x80
	v_and_b32_e32 v7, 64, v0
	v_sub_u32_e64 v7, s2, v7 clamp
	v_add_u32_e32 v12, 1, v6
	v_cmp_lt_u32_e32 vcc, v12, v7
	s_and_saveexec_b64 s[0:1], vcc
	s_xor_b64 s[0:1], exec, s[0:1]
	s_cbranch_execz .LBB15_83
; %bb.82:
	s_waitcnt lgkmcnt(3)
	v_cmp_gt_f32_e32 vcc, v1, v11
	v_cndmask_b32_e32 v1, v1, v11, vcc
	s_waitcnt lgkmcnt(2)
	v_cmp_gt_f32_e32 vcc, v2, v10
	v_cndmask_b32_e32 v2, v2, v10, vcc
	s_waitcnt lgkmcnt(1)
	v_cmp_lt_f32_e32 vcc, v3, v9
	v_cndmask_b32_e32 v3, v3, v9, vcc
	s_waitcnt lgkmcnt(0)
	v_cmp_lt_f32_e32 vcc, v4, v8
	v_cndmask_b32_e32 v4, v4, v8, vcc
.LBB15_83:
	s_or_b64 exec, exec, s[0:1]
	v_cmp_gt_u32_e32 vcc, 62, v6
	s_waitcnt lgkmcnt(0)
	v_cndmask_b32_e64 v8, 0, 2, vcc
	v_add_lshl_u32 v8, v8, v5, 2
	ds_bpermute_b32 v11, v8, v1
	ds_bpermute_b32 v10, v8, v2
	ds_bpermute_b32 v9, v8, v3
	ds_bpermute_b32 v8, v8, v4
	v_add_u32_e32 v12, 2, v6
	v_cmp_lt_u32_e32 vcc, v12, v7
	s_and_saveexec_b64 s[0:1], vcc
	s_cbranch_execz .LBB15_85
; %bb.84:
	s_waitcnt lgkmcnt(3)
	v_cmp_gt_f32_e32 vcc, v1, v11
	v_cndmask_b32_e32 v1, v1, v11, vcc
	s_waitcnt lgkmcnt(2)
	v_cmp_gt_f32_e32 vcc, v2, v10
	v_cndmask_b32_e32 v2, v2, v10, vcc
	s_waitcnt lgkmcnt(1)
	v_cmp_lt_f32_e32 vcc, v3, v9
	v_cndmask_b32_e32 v3, v3, v9, vcc
	s_waitcnt lgkmcnt(0)
	v_cmp_lt_f32_e32 vcc, v4, v8
	v_cndmask_b32_e32 v4, v4, v8, vcc
.LBB15_85:
	s_or_b64 exec, exec, s[0:1]
	v_cmp_gt_u32_e32 vcc, 60, v6
	s_waitcnt lgkmcnt(0)
	v_cndmask_b32_e64 v8, 0, 4, vcc
	v_add_lshl_u32 v8, v8, v5, 2
	ds_bpermute_b32 v11, v8, v1
	ds_bpermute_b32 v10, v8, v2
	ds_bpermute_b32 v9, v8, v3
	ds_bpermute_b32 v8, v8, v4
	v_add_u32_e32 v12, 4, v6
	v_cmp_lt_u32_e32 vcc, v12, v7
	s_and_saveexec_b64 s[0:1], vcc
	;; [unrolled: 27-line block ×4, first 2 shown]
	s_cbranch_execz .LBB15_91
; %bb.90:
	s_waitcnt lgkmcnt(3)
	v_cmp_gt_f32_e32 vcc, v1, v11
	v_cndmask_b32_e32 v1, v1, v11, vcc
	s_waitcnt lgkmcnt(2)
	v_cmp_gt_f32_e32 vcc, v2, v10
	v_cndmask_b32_e32 v2, v2, v10, vcc
	s_waitcnt lgkmcnt(1)
	v_cmp_lt_f32_e32 vcc, v3, v9
	v_cndmask_b32_e32 v3, v3, v9, vcc
	s_waitcnt lgkmcnt(0)
	v_cmp_lt_f32_e32 vcc, v4, v8
	v_cndmask_b32_e32 v4, v4, v8, vcc
.LBB15_91:
	s_or_b64 exec, exec, s[0:1]
	s_waitcnt lgkmcnt(0)
	v_lshlrev_b32_e32 v8, 2, v5
	v_or_b32_e32 v9, 0x80, v8
	ds_bpermute_b32 v12, v9, v1
	ds_bpermute_b32 v11, v9, v2
	;; [unrolled: 1-line block ×4, first 2 shown]
	v_add_u32_e32 v6, 32, v6
	v_cmp_lt_u32_e32 vcc, v6, v7
	s_and_saveexec_b64 s[0:1], vcc
	s_cbranch_execz .LBB15_93
; %bb.92:
	s_waitcnt lgkmcnt(3)
	v_cmp_gt_f32_e32 vcc, v1, v12
	v_cndmask_b32_e32 v1, v1, v12, vcc
	s_waitcnt lgkmcnt(2)
	v_cmp_gt_f32_e32 vcc, v2, v11
	v_cndmask_b32_e32 v2, v2, v11, vcc
	s_waitcnt lgkmcnt(1)
	v_cmp_lt_f32_e32 vcc, v3, v10
	v_cndmask_b32_e32 v3, v3, v10, vcc
	s_waitcnt lgkmcnt(0)
	v_cmp_lt_f32_e32 vcc, v4, v9
	v_cndmask_b32_e32 v4, v4, v9, vcc
.LBB15_93:
	s_or_b64 exec, exec, s[0:1]
	v_cmp_eq_u32_e32 vcc, 0, v5
	s_and_saveexec_b64 s[0:1], vcc
; %bb.94:
	v_lshrrev_b32_e32 v6, 2, v0
	v_and_b32_e32 v6, 16, v6
	ds_write2_b64 v6, v[1:2], v[3:4] offset1:1
; %bb.95:
	s_or_b64 exec, exec, s[0:1]
	v_cmp_gt_u32_e32 vcc, 2, v0
	s_waitcnt lgkmcnt(0)
	s_barrier
	s_and_saveexec_b64 s[0:1], vcc
	s_cbranch_execz .LBB15_99
; %bb.96:
	v_lshlrev_b32_e32 v1, 4, v5
	ds_read2_b64 v[1:4], v1 offset1:1
	v_or_b32_e32 v6, 4, v8
	s_add_i32 s2, s2, 63
	v_and_b32_e32 v5, 1, v5
	s_lshr_b32 s2, s2, 6
	s_waitcnt lgkmcnt(0)
	ds_bpermute_b32 v9, v6, v1
	ds_bpermute_b32 v8, v6, v2
	;; [unrolled: 1-line block ×4, first 2 shown]
	v_add_u32_e32 v5, 1, v5
	v_cmp_gt_u32_e32 vcc, s2, v5
	s_and_saveexec_b64 s[2:3], vcc
	s_cbranch_execz .LBB15_98
; %bb.97:
	s_waitcnt lgkmcnt(3)
	v_cmp_gt_f32_e32 vcc, v1, v9
	v_cndmask_b32_e32 v1, v1, v9, vcc
	s_waitcnt lgkmcnt(2)
	v_cmp_gt_f32_e32 vcc, v2, v8
	v_cndmask_b32_e32 v2, v2, v8, vcc
	s_waitcnt lgkmcnt(1)
	v_cmp_lt_f32_e32 vcc, v3, v7
	v_cndmask_b32_e32 v3, v3, v7, vcc
	s_waitcnt lgkmcnt(0)
	v_cmp_lt_f32_e32 vcc, v4, v6
	v_cndmask_b32_e32 v4, v4, v6, vcc
.LBB15_98:
	s_or_b64 exec, exec, s[2:3]
.LBB15_99:
	s_or_b64 exec, exec, s[0:1]
.LBB15_100:
	v_cmp_eq_u32_e32 vcc, 0, v0
                                        ; implicit-def: $vgpr8
	s_and_saveexec_b64 s[0:1], vcc
	s_xor_b64 s[0:1], exec, s[0:1]
	s_cbranch_execz .LBB15_104
; %bb.101:
	s_cmp_eq_u64 s[22:23], 0
	s_waitcnt lgkmcnt(2)
	v_mov_b32_e32 v8, s19
	s_waitcnt lgkmcnt(1)
	v_mov_b32_e32 v7, s18
	;; [unrolled: 2-line block ×3, first 2 shown]
	v_mov_b32_e32 v5, s16
	s_cbranch_scc1 .LBB15_103
; %bb.102:
	v_mov_b32_e32 v5, s16
	v_cmp_gt_f32_e32 vcc, s16, v1
	v_cndmask_b32_e32 v5, v5, v1, vcc
	v_mov_b32_e32 v1, s17
	v_cmp_gt_f32_e32 vcc, s17, v2
	v_cndmask_b32_e32 v6, v1, v2, vcc
	v_mov_b32_e32 v1, s18
	v_cmp_lt_f32_e32 vcc, s18, v3
	v_cndmask_b32_e32 v7, v1, v3, vcc
	v_mov_b32_e32 v1, s19
	v_cmp_lt_f32_e32 vcc, s19, v4
	v_cndmask_b32_e32 v8, v1, v4, vcc
.LBB15_103:
	s_or_b64 s[8:9], s[8:9], exec
.LBB15_104:
	s_or_b64 exec, exec, s[0:1]
	s_branch .LBB15_152
.LBB15_105:
	s_cmp_gt_i32 s30, 1
	s_cbranch_scc0 .LBB15_113
; %bb.106:
	s_cmp_eq_u32 s30, 2
	s_cbranch_scc0 .LBB15_114
; %bb.107:
	s_mov_b32 s7, 0
	s_lshl_b32 s2, s6, 8
	s_mov_b32 s3, s7
	s_lshr_b64 s[10:11], s[22:23], 8
	s_lshl_b64 s[0:1], s[2:3], 4
	s_add_u32 s0, s20, s0
	s_addc_u32 s1, s21, s1
	s_cmp_lg_u64 s[10:11], s[6:7]
	s_cbranch_scc0 .LBB15_115
; %bb.108:
	v_lshlrev_b32_e32 v5, 4, v0
	global_load_dwordx4 v[1:4], v5, s[0:1]
	s_waitcnt lgkmcnt(1)
	global_load_dwordx4 v[7:10], v5, s[0:1] offset:2048
	v_mbcnt_lo_u32_b32 v5, -1, 0
	v_mbcnt_hi_u32_b32 v5, -1, v5
	s_waitcnt lgkmcnt(0)
	v_lshlrev_b32_e32 v6, 2, v5
	v_or_b32_e32 v11, 0xfc, v6
	s_waitcnt vmcnt(0)
	v_cmp_lt_f32_e32 vcc, v7, v1
	v_cndmask_b32_e32 v1, v1, v7, vcc
	v_cmp_lt_f32_e32 vcc, v8, v2
	v_cndmask_b32_e32 v2, v2, v8, vcc
	;; [unrolled: 2-line block ×3, first 2 shown]
	v_cmp_lt_f32_e32 vcc, v4, v10
	v_mov_b32_dpp v7, v1 quad_perm:[1,0,3,2] row_mask:0xf bank_mask:0xf bound_ctrl:1
	v_cndmask_b32_e32 v4, v4, v10, vcc
	v_mov_b32_dpp v8, v2 quad_perm:[1,0,3,2] row_mask:0xf bank_mask:0xf bound_ctrl:1
	v_cmp_lt_f32_e32 vcc, v1, v7
	v_mov_b32_dpp v9, v3 quad_perm:[1,0,3,2] row_mask:0xf bank_mask:0xf bound_ctrl:1
	v_cndmask_b32_e32 v1, v7, v1, vcc
	v_cmp_lt_f32_e32 vcc, v2, v8
	v_mov_b32_dpp v10, v4 quad_perm:[1,0,3,2] row_mask:0xf bank_mask:0xf bound_ctrl:1
	v_cndmask_b32_e32 v2, v8, v2, vcc
	v_cmp_gt_f32_e32 vcc, v3, v9
	v_cndmask_b32_e32 v3, v9, v3, vcc
	v_cmp_gt_f32_e32 vcc, v4, v10
	v_mov_b32_dpp v7, v1 quad_perm:[2,3,0,1] row_mask:0xf bank_mask:0xf bound_ctrl:1
	v_cndmask_b32_e32 v4, v10, v4, vcc
	v_mov_b32_dpp v8, v2 quad_perm:[2,3,0,1] row_mask:0xf bank_mask:0xf bound_ctrl:1
	v_cmp_lt_f32_e32 vcc, v1, v7
	v_mov_b32_dpp v9, v3 quad_perm:[2,3,0,1] row_mask:0xf bank_mask:0xf bound_ctrl:1
	v_cndmask_b32_e32 v1, v7, v1, vcc
	v_cmp_lt_f32_e32 vcc, v2, v8
	v_mov_b32_dpp v10, v4 quad_perm:[2,3,0,1] row_mask:0xf bank_mask:0xf bound_ctrl:1
	v_cndmask_b32_e32 v2, v8, v2, vcc
	v_cmp_gt_f32_e32 vcc, v3, v9
	v_cndmask_b32_e32 v3, v9, v3, vcc
	v_cmp_gt_f32_e32 vcc, v4, v10
	v_mov_b32_dpp v7, v1 row_ror:4 row_mask:0xf bank_mask:0xf bound_ctrl:1
	v_cndmask_b32_e32 v4, v10, v4, vcc
	v_mov_b32_dpp v8, v2 row_ror:4 row_mask:0xf bank_mask:0xf bound_ctrl:1
	v_cmp_lt_f32_e32 vcc, v1, v7
	v_mov_b32_dpp v9, v3 row_ror:4 row_mask:0xf bank_mask:0xf bound_ctrl:1
	v_cndmask_b32_e32 v1, v7, v1, vcc
	v_cmp_lt_f32_e32 vcc, v2, v8
	v_mov_b32_dpp v10, v4 row_ror:4 row_mask:0xf bank_mask:0xf bound_ctrl:1
	v_cndmask_b32_e32 v2, v8, v2, vcc
	v_cmp_gt_f32_e32 vcc, v3, v9
	v_cndmask_b32_e32 v3, v9, v3, vcc
	v_cmp_gt_f32_e32 vcc, v4, v10
	v_mov_b32_dpp v7, v1 row_ror:8 row_mask:0xf bank_mask:0xf bound_ctrl:1
	v_cndmask_b32_e32 v4, v10, v4, vcc
	v_mov_b32_dpp v8, v2 row_ror:8 row_mask:0xf bank_mask:0xf bound_ctrl:1
	v_cmp_lt_f32_e32 vcc, v1, v7
	v_mov_b32_dpp v9, v3 row_ror:8 row_mask:0xf bank_mask:0xf bound_ctrl:1
	v_cndmask_b32_e32 v1, v7, v1, vcc
	v_cmp_lt_f32_e32 vcc, v2, v8
	v_mov_b32_dpp v10, v4 row_ror:8 row_mask:0xf bank_mask:0xf bound_ctrl:1
	v_cndmask_b32_e32 v2, v8, v2, vcc
	v_cmp_gt_f32_e32 vcc, v3, v9
	v_cndmask_b32_e32 v3, v9, v3, vcc
	v_cmp_gt_f32_e32 vcc, v4, v10
	v_mov_b32_dpp v7, v1 row_bcast:15 row_mask:0xf bank_mask:0xf bound_ctrl:1
	v_cndmask_b32_e32 v4, v10, v4, vcc
	v_mov_b32_dpp v8, v2 row_bcast:15 row_mask:0xf bank_mask:0xf bound_ctrl:1
	v_cmp_lt_f32_e32 vcc, v1, v7
	v_mov_b32_dpp v9, v3 row_bcast:15 row_mask:0xf bank_mask:0xf bound_ctrl:1
	v_cndmask_b32_e32 v1, v7, v1, vcc
	v_cmp_lt_f32_e32 vcc, v2, v8
	v_mov_b32_dpp v10, v4 row_bcast:15 row_mask:0xf bank_mask:0xf bound_ctrl:1
	v_cndmask_b32_e32 v2, v8, v2, vcc
	v_cmp_gt_f32_e32 vcc, v3, v9
	v_cndmask_b32_e32 v3, v9, v3, vcc
	v_cmp_gt_f32_e32 vcc, v4, v10
	v_mov_b32_dpp v7, v1 row_bcast:31 row_mask:0xf bank_mask:0xf bound_ctrl:1
	v_cndmask_b32_e32 v4, v10, v4, vcc
	v_mov_b32_dpp v8, v2 row_bcast:31 row_mask:0xf bank_mask:0xf bound_ctrl:1
	v_cmp_lt_f32_e32 vcc, v1, v7
	v_mov_b32_dpp v9, v3 row_bcast:31 row_mask:0xf bank_mask:0xf bound_ctrl:1
	v_cndmask_b32_e32 v1, v7, v1, vcc
	v_cmp_lt_f32_e32 vcc, v2, v8
	v_mov_b32_dpp v10, v4 row_bcast:31 row_mask:0xf bank_mask:0xf bound_ctrl:1
	v_cndmask_b32_e32 v2, v8, v2, vcc
	v_cmp_gt_f32_e32 vcc, v3, v9
	v_cndmask_b32_e32 v3, v9, v3, vcc
	v_cmp_gt_f32_e32 vcc, v4, v10
	v_cndmask_b32_e32 v4, v10, v4, vcc
	ds_bpermute_b32 v1, v11, v1
	ds_bpermute_b32 v2, v11, v2
	;; [unrolled: 1-line block ×4, first 2 shown]
	v_cmp_eq_u32_e32 vcc, 0, v5
	s_and_saveexec_b64 s[10:11], vcc
	s_cbranch_execz .LBB15_110
; %bb.109:
	v_lshrrev_b32_e32 v7, 2, v0
	v_and_b32_e32 v7, 16, v7
	s_waitcnt lgkmcnt(0)
	ds_write2_b64 v7, v[1:2], v[3:4] offset0:8 offset1:9
.LBB15_110:
	s_or_b64 exec, exec, s[10:11]
	v_cmp_gt_u32_e32 vcc, 64, v0
	s_waitcnt lgkmcnt(0)
	s_barrier
	s_and_saveexec_b64 s[10:11], vcc
	s_cbranch_execz .LBB15_112
; %bb.111:
	v_and_b32_e32 v1, 1, v5
	v_lshlrev_b32_e32 v1, 4, v1
	ds_read2_b64 v[1:4], v1 offset0:8 offset1:9
	v_or_b32_e32 v5, 4, v6
	s_waitcnt lgkmcnt(0)
	ds_bpermute_b32 v6, v5, v1
	ds_bpermute_b32 v7, v5, v2
	ds_bpermute_b32 v8, v5, v3
	ds_bpermute_b32 v5, v5, v4
	s_waitcnt lgkmcnt(3)
	v_cmp_gt_f32_e32 vcc, v1, v6
	v_cndmask_b32_e32 v1, v1, v6, vcc
	s_waitcnt lgkmcnt(2)
	v_cmp_gt_f32_e32 vcc, v2, v7
	v_cndmask_b32_e32 v2, v2, v7, vcc
	s_waitcnt lgkmcnt(1)
	v_cmp_lt_f32_e32 vcc, v3, v8
	v_cndmask_b32_e32 v3, v3, v8, vcc
	s_waitcnt lgkmcnt(0)
	v_cmp_lt_f32_e32 vcc, v4, v5
	v_cndmask_b32_e32 v4, v4, v5, vcc
.LBB15_112:
	s_or_b64 exec, exec, s[10:11]
	s_branch .LBB15_139
.LBB15_113:
                                        ; implicit-def: $vgpr8
	s_cbranch_execnz .LBB15_144
	s_branch .LBB15_152
.LBB15_114:
                                        ; implicit-def: $vgpr8
	s_branch .LBB15_152
.LBB15_115:
                                        ; implicit-def: $vgpr4
	s_cbranch_execz .LBB15_139
; %bb.116:
	s_sub_i32 s10, s22, s2
	v_cmp_gt_u32_e32 vcc, s10, v0
	v_mov_b32_e32 v4, 0
	v_mov_b32_e32 v3, 0
	;; [unrolled: 1-line block ×4, first 2 shown]
	s_and_saveexec_b64 s[2:3], vcc
	s_cbranch_execz .LBB15_118
; %bb.117:
	v_lshlrev_b32_e32 v1, 4, v0
	global_load_dwordx4 v[1:4], v1, s[0:1]
.LBB15_118:
	s_or_b64 exec, exec, s[2:3]
	v_or_b32_e32 v5, 0x80, v0
	v_cmp_gt_u32_e32 vcc, s10, v5
	s_and_saveexec_b64 s[2:3], vcc
	s_cbranch_execz .LBB15_120
; %bb.119:
	v_lshlrev_b32_e32 v5, 4, v0
	s_waitcnt lgkmcnt(0)
	global_load_dwordx4 v[5:8], v5, s[0:1] offset:2048
	s_waitcnt vmcnt(0)
	v_cmp_lt_f32_e32 vcc, v5, v1
	v_cndmask_b32_e32 v1, v1, v5, vcc
	v_cmp_lt_f32_e32 vcc, v6, v2
	v_cndmask_b32_e32 v2, v2, v6, vcc
	;; [unrolled: 2-line block ×4, first 2 shown]
.LBB15_120:
	s_or_b64 exec, exec, s[2:3]
	v_mbcnt_lo_u32_b32 v5, -1, 0
	v_mbcnt_hi_u32_b32 v5, -1, v5
	s_waitcnt lgkmcnt(0)
	v_and_b32_e32 v6, 63, v5
	v_cmp_ne_u32_e32 vcc, 63, v6
	v_addc_co_u32_e32 v7, vcc, 0, v5, vcc
	v_lshlrev_b32_e32 v7, 2, v7
	s_waitcnt vmcnt(0)
	ds_bpermute_b32 v11, v7, v1
	ds_bpermute_b32 v10, v7, v2
	;; [unrolled: 1-line block ×4, first 2 shown]
	s_min_u32 s2, s10, 0x80
	v_and_b32_e32 v7, 64, v0
	v_sub_u32_e64 v7, s2, v7 clamp
	v_add_u32_e32 v12, 1, v6
	v_cmp_lt_u32_e32 vcc, v12, v7
	s_and_saveexec_b64 s[0:1], vcc
	s_xor_b64 s[0:1], exec, s[0:1]
	s_cbranch_execz .LBB15_122
; %bb.121:
	s_waitcnt lgkmcnt(3)
	v_cmp_gt_f32_e32 vcc, v1, v11
	v_cndmask_b32_e32 v1, v1, v11, vcc
	s_waitcnt lgkmcnt(2)
	v_cmp_gt_f32_e32 vcc, v2, v10
	v_cndmask_b32_e32 v2, v2, v10, vcc
	s_waitcnt lgkmcnt(1)
	v_cmp_lt_f32_e32 vcc, v3, v9
	v_cndmask_b32_e32 v3, v3, v9, vcc
	s_waitcnt lgkmcnt(0)
	v_cmp_lt_f32_e32 vcc, v4, v8
	v_cndmask_b32_e32 v4, v4, v8, vcc
.LBB15_122:
	s_or_b64 exec, exec, s[0:1]
	v_cmp_gt_u32_e32 vcc, 62, v6
	s_waitcnt lgkmcnt(0)
	v_cndmask_b32_e64 v8, 0, 2, vcc
	v_add_lshl_u32 v8, v8, v5, 2
	ds_bpermute_b32 v11, v8, v1
	ds_bpermute_b32 v10, v8, v2
	ds_bpermute_b32 v9, v8, v3
	ds_bpermute_b32 v8, v8, v4
	v_add_u32_e32 v12, 2, v6
	v_cmp_lt_u32_e32 vcc, v12, v7
	s_and_saveexec_b64 s[0:1], vcc
	s_cbranch_execz .LBB15_124
; %bb.123:
	s_waitcnt lgkmcnt(3)
	v_cmp_gt_f32_e32 vcc, v1, v11
	v_cndmask_b32_e32 v1, v1, v11, vcc
	s_waitcnt lgkmcnt(2)
	v_cmp_gt_f32_e32 vcc, v2, v10
	v_cndmask_b32_e32 v2, v2, v10, vcc
	s_waitcnt lgkmcnt(1)
	v_cmp_lt_f32_e32 vcc, v3, v9
	v_cndmask_b32_e32 v3, v3, v9, vcc
	s_waitcnt lgkmcnt(0)
	v_cmp_lt_f32_e32 vcc, v4, v8
	v_cndmask_b32_e32 v4, v4, v8, vcc
.LBB15_124:
	s_or_b64 exec, exec, s[0:1]
	v_cmp_gt_u32_e32 vcc, 60, v6
	s_waitcnt lgkmcnt(0)
	v_cndmask_b32_e64 v8, 0, 4, vcc
	v_add_lshl_u32 v8, v8, v5, 2
	ds_bpermute_b32 v11, v8, v1
	ds_bpermute_b32 v10, v8, v2
	ds_bpermute_b32 v9, v8, v3
	ds_bpermute_b32 v8, v8, v4
	v_add_u32_e32 v12, 4, v6
	v_cmp_lt_u32_e32 vcc, v12, v7
	s_and_saveexec_b64 s[0:1], vcc
	;; [unrolled: 27-line block ×4, first 2 shown]
	s_cbranch_execz .LBB15_130
; %bb.129:
	s_waitcnt lgkmcnt(3)
	v_cmp_gt_f32_e32 vcc, v1, v11
	v_cndmask_b32_e32 v1, v1, v11, vcc
	s_waitcnt lgkmcnt(2)
	v_cmp_gt_f32_e32 vcc, v2, v10
	v_cndmask_b32_e32 v2, v2, v10, vcc
	s_waitcnt lgkmcnt(1)
	v_cmp_lt_f32_e32 vcc, v3, v9
	v_cndmask_b32_e32 v3, v3, v9, vcc
	s_waitcnt lgkmcnt(0)
	v_cmp_lt_f32_e32 vcc, v4, v8
	v_cndmask_b32_e32 v4, v4, v8, vcc
.LBB15_130:
	s_or_b64 exec, exec, s[0:1]
	s_waitcnt lgkmcnt(0)
	v_lshlrev_b32_e32 v8, 2, v5
	v_or_b32_e32 v9, 0x80, v8
	ds_bpermute_b32 v12, v9, v1
	ds_bpermute_b32 v11, v9, v2
	;; [unrolled: 1-line block ×4, first 2 shown]
	v_add_u32_e32 v6, 32, v6
	v_cmp_lt_u32_e32 vcc, v6, v7
	s_and_saveexec_b64 s[0:1], vcc
	s_cbranch_execz .LBB15_132
; %bb.131:
	s_waitcnt lgkmcnt(3)
	v_cmp_gt_f32_e32 vcc, v1, v12
	v_cndmask_b32_e32 v1, v1, v12, vcc
	s_waitcnt lgkmcnt(2)
	v_cmp_gt_f32_e32 vcc, v2, v11
	v_cndmask_b32_e32 v2, v2, v11, vcc
	s_waitcnt lgkmcnt(1)
	v_cmp_lt_f32_e32 vcc, v3, v10
	v_cndmask_b32_e32 v3, v3, v10, vcc
	s_waitcnt lgkmcnt(0)
	v_cmp_lt_f32_e32 vcc, v4, v9
	v_cndmask_b32_e32 v4, v4, v9, vcc
.LBB15_132:
	s_or_b64 exec, exec, s[0:1]
	v_cmp_eq_u32_e32 vcc, 0, v5
	s_and_saveexec_b64 s[0:1], vcc
; %bb.133:
	v_lshrrev_b32_e32 v6, 2, v0
	v_and_b32_e32 v6, 16, v6
	ds_write2_b64 v6, v[1:2], v[3:4] offset1:1
; %bb.134:
	s_or_b64 exec, exec, s[0:1]
	v_cmp_gt_u32_e32 vcc, 2, v0
	s_waitcnt lgkmcnt(0)
	s_barrier
	s_and_saveexec_b64 s[0:1], vcc
	s_cbranch_execz .LBB15_138
; %bb.135:
	v_lshlrev_b32_e32 v1, 4, v5
	ds_read2_b64 v[1:4], v1 offset1:1
	v_or_b32_e32 v6, 4, v8
	s_add_i32 s2, s2, 63
	v_and_b32_e32 v5, 1, v5
	s_lshr_b32 s2, s2, 6
	s_waitcnt lgkmcnt(0)
	ds_bpermute_b32 v9, v6, v1
	ds_bpermute_b32 v8, v6, v2
	;; [unrolled: 1-line block ×4, first 2 shown]
	v_add_u32_e32 v5, 1, v5
	v_cmp_gt_u32_e32 vcc, s2, v5
	s_and_saveexec_b64 s[2:3], vcc
	s_cbranch_execz .LBB15_137
; %bb.136:
	s_waitcnt lgkmcnt(3)
	v_cmp_gt_f32_e32 vcc, v1, v9
	v_cndmask_b32_e32 v1, v1, v9, vcc
	s_waitcnt lgkmcnt(2)
	v_cmp_gt_f32_e32 vcc, v2, v8
	v_cndmask_b32_e32 v2, v2, v8, vcc
	s_waitcnt lgkmcnt(1)
	v_cmp_lt_f32_e32 vcc, v3, v7
	v_cndmask_b32_e32 v3, v3, v7, vcc
	s_waitcnt lgkmcnt(0)
	v_cmp_lt_f32_e32 vcc, v4, v6
	v_cndmask_b32_e32 v4, v4, v6, vcc
.LBB15_137:
	s_or_b64 exec, exec, s[2:3]
.LBB15_138:
	s_or_b64 exec, exec, s[0:1]
.LBB15_139:
	v_cmp_eq_u32_e32 vcc, 0, v0
                                        ; implicit-def: $vgpr8
	s_and_saveexec_b64 s[0:1], vcc
	s_xor_b64 s[0:1], exec, s[0:1]
	s_cbranch_execz .LBB15_143
; %bb.140:
	s_cmp_eq_u64 s[22:23], 0
	s_waitcnt lgkmcnt(2)
	v_mov_b32_e32 v8, s19
	s_waitcnt lgkmcnt(1)
	v_mov_b32_e32 v7, s18
	;; [unrolled: 2-line block ×3, first 2 shown]
	v_mov_b32_e32 v5, s16
	s_cbranch_scc1 .LBB15_142
; %bb.141:
	v_mov_b32_e32 v5, s16
	v_cmp_gt_f32_e32 vcc, s16, v1
	v_cndmask_b32_e32 v5, v5, v1, vcc
	v_mov_b32_e32 v1, s17
	v_cmp_gt_f32_e32 vcc, s17, v2
	v_cndmask_b32_e32 v6, v1, v2, vcc
	v_mov_b32_e32 v1, s18
	v_cmp_lt_f32_e32 vcc, s18, v3
	v_cndmask_b32_e32 v7, v1, v3, vcc
	v_mov_b32_e32 v1, s19
	v_cmp_lt_f32_e32 vcc, s19, v4
	v_cndmask_b32_e32 v8, v1, v4, vcc
.LBB15_142:
	s_or_b64 s[8:9], s[8:9], exec
.LBB15_143:
	s_or_b64 exec, exec, s[0:1]
	s_branch .LBB15_152
.LBB15_144:
	s_cmp_eq_u32 s30, 1
	s_cbranch_scc0 .LBB15_151
; %bb.145:
	s_mov_b32 s1, 0
	s_lshl_b32 s0, s6, 7
	s_mov_b32 s7, s1
	s_lshr_b64 s[2:3], s[22:23], 7
	s_cmp_lg_u64 s[2:3], s[6:7]
	v_mbcnt_lo_u32_b32 v5, -1, 0
	s_cbranch_scc0 .LBB15_155
; %bb.146:
	s_lshl_b64 s[2:3], s[0:1], 4
	s_add_u32 s2, s20, s2
	s_addc_u32 s3, s21, s3
	v_lshlrev_b32_e32 v1, 4, v0
	global_load_dwordx4 v[1:4], v1, s[2:3]
	s_waitcnt lgkmcnt(0)
	v_mbcnt_hi_u32_b32 v6, -1, v5
	v_lshlrev_b32_e32 v7, 2, v6
	v_or_b32_e32 v8, 0xfc, v7
	s_waitcnt vmcnt(0)
	v_mov_b32_dpp v9, v1 quad_perm:[1,0,3,2] row_mask:0xf bank_mask:0xf bound_ctrl:1
	v_mov_b32_dpp v10, v2 quad_perm:[1,0,3,2] row_mask:0xf bank_mask:0xf bound_ctrl:1
	v_cmp_lt_f32_e32 vcc, v1, v9
	v_mov_b32_dpp v11, v3 quad_perm:[1,0,3,2] row_mask:0xf bank_mask:0xf bound_ctrl:1
	v_cndmask_b32_e32 v1, v9, v1, vcc
	v_cmp_lt_f32_e32 vcc, v2, v10
	v_mov_b32_dpp v12, v4 quad_perm:[1,0,3,2] row_mask:0xf bank_mask:0xf bound_ctrl:1
	v_cndmask_b32_e32 v2, v10, v2, vcc
	v_cmp_gt_f32_e32 vcc, v3, v11
	v_cndmask_b32_e32 v3, v11, v3, vcc
	v_cmp_gt_f32_e32 vcc, v4, v12
	v_mov_b32_dpp v9, v1 quad_perm:[2,3,0,1] row_mask:0xf bank_mask:0xf bound_ctrl:1
	v_cndmask_b32_e32 v4, v12, v4, vcc
	v_mov_b32_dpp v10, v2 quad_perm:[2,3,0,1] row_mask:0xf bank_mask:0xf bound_ctrl:1
	v_cmp_lt_f32_e32 vcc, v1, v9
	v_mov_b32_dpp v11, v3 quad_perm:[2,3,0,1] row_mask:0xf bank_mask:0xf bound_ctrl:1
	v_cndmask_b32_e32 v1, v9, v1, vcc
	v_cmp_lt_f32_e32 vcc, v2, v10
	v_mov_b32_dpp v12, v4 quad_perm:[2,3,0,1] row_mask:0xf bank_mask:0xf bound_ctrl:1
	v_cndmask_b32_e32 v2, v10, v2, vcc
	v_cmp_gt_f32_e32 vcc, v3, v11
	v_cndmask_b32_e32 v3, v11, v3, vcc
	v_cmp_gt_f32_e32 vcc, v4, v12
	v_mov_b32_dpp v9, v1 row_ror:4 row_mask:0xf bank_mask:0xf bound_ctrl:1
	v_cndmask_b32_e32 v4, v12, v4, vcc
	v_mov_b32_dpp v10, v2 row_ror:4 row_mask:0xf bank_mask:0xf bound_ctrl:1
	v_cmp_lt_f32_e32 vcc, v1, v9
	v_mov_b32_dpp v11, v3 row_ror:4 row_mask:0xf bank_mask:0xf bound_ctrl:1
	v_cndmask_b32_e32 v1, v9, v1, vcc
	v_cmp_lt_f32_e32 vcc, v2, v10
	v_mov_b32_dpp v12, v4 row_ror:4 row_mask:0xf bank_mask:0xf bound_ctrl:1
	v_cndmask_b32_e32 v2, v10, v2, vcc
	v_cmp_gt_f32_e32 vcc, v3, v11
	v_cndmask_b32_e32 v3, v11, v3, vcc
	v_cmp_gt_f32_e32 vcc, v4, v12
	v_mov_b32_dpp v9, v1 row_ror:8 row_mask:0xf bank_mask:0xf bound_ctrl:1
	v_cndmask_b32_e32 v4, v12, v4, vcc
	v_mov_b32_dpp v10, v2 row_ror:8 row_mask:0xf bank_mask:0xf bound_ctrl:1
	v_cmp_lt_f32_e32 vcc, v1, v9
	v_mov_b32_dpp v11, v3 row_ror:8 row_mask:0xf bank_mask:0xf bound_ctrl:1
	v_cndmask_b32_e32 v1, v9, v1, vcc
	v_cmp_lt_f32_e32 vcc, v2, v10
	v_mov_b32_dpp v12, v4 row_ror:8 row_mask:0xf bank_mask:0xf bound_ctrl:1
	v_cndmask_b32_e32 v2, v10, v2, vcc
	v_cmp_gt_f32_e32 vcc, v3, v11
	v_cndmask_b32_e32 v3, v11, v3, vcc
	v_cmp_gt_f32_e32 vcc, v4, v12
	v_mov_b32_dpp v9, v1 row_bcast:15 row_mask:0xf bank_mask:0xf bound_ctrl:1
	v_cndmask_b32_e32 v4, v12, v4, vcc
	v_mov_b32_dpp v10, v2 row_bcast:15 row_mask:0xf bank_mask:0xf bound_ctrl:1
	v_cmp_lt_f32_e32 vcc, v1, v9
	v_mov_b32_dpp v11, v3 row_bcast:15 row_mask:0xf bank_mask:0xf bound_ctrl:1
	v_cndmask_b32_e32 v1, v9, v1, vcc
	v_cmp_lt_f32_e32 vcc, v2, v10
	v_mov_b32_dpp v12, v4 row_bcast:15 row_mask:0xf bank_mask:0xf bound_ctrl:1
	v_cndmask_b32_e32 v2, v10, v2, vcc
	v_cmp_gt_f32_e32 vcc, v3, v11
	v_cndmask_b32_e32 v3, v11, v3, vcc
	v_cmp_gt_f32_e32 vcc, v4, v12
	v_mov_b32_dpp v9, v1 row_bcast:31 row_mask:0xf bank_mask:0xf bound_ctrl:1
	v_cndmask_b32_e32 v4, v12, v4, vcc
	v_mov_b32_dpp v10, v2 row_bcast:31 row_mask:0xf bank_mask:0xf bound_ctrl:1
	v_cmp_lt_f32_e32 vcc, v1, v9
	v_mov_b32_dpp v11, v3 row_bcast:31 row_mask:0xf bank_mask:0xf bound_ctrl:1
	v_cndmask_b32_e32 v1, v9, v1, vcc
	v_cmp_lt_f32_e32 vcc, v2, v10
	v_mov_b32_dpp v12, v4 row_bcast:31 row_mask:0xf bank_mask:0xf bound_ctrl:1
	v_cndmask_b32_e32 v2, v10, v2, vcc
	v_cmp_gt_f32_e32 vcc, v3, v11
	v_cndmask_b32_e32 v3, v11, v3, vcc
	v_cmp_gt_f32_e32 vcc, v4, v12
	v_cndmask_b32_e32 v4, v12, v4, vcc
	ds_bpermute_b32 v1, v8, v1
	ds_bpermute_b32 v2, v8, v2
	;; [unrolled: 1-line block ×4, first 2 shown]
	v_cmp_eq_u32_e32 vcc, 0, v6
	s_and_saveexec_b64 s[2:3], vcc
	s_cbranch_execz .LBB15_148
; %bb.147:
	v_lshrrev_b32_e32 v8, 2, v0
	v_and_b32_e32 v8, 16, v8
	s_waitcnt lgkmcnt(0)
	ds_write2_b64 v8, v[1:2], v[3:4] offset0:4 offset1:5
.LBB15_148:
	s_or_b64 exec, exec, s[2:3]
	v_cmp_gt_u32_e32 vcc, 64, v0
	s_waitcnt lgkmcnt(0)
	s_barrier
	s_and_saveexec_b64 s[2:3], vcc
	s_cbranch_execz .LBB15_150
; %bb.149:
	v_and_b32_e32 v1, 1, v6
	v_lshlrev_b32_e32 v1, 4, v1
	ds_read2_b64 v[1:4], v1 offset0:4 offset1:5
	v_or_b32_e32 v6, 4, v7
	s_waitcnt lgkmcnt(0)
	ds_bpermute_b32 v7, v6, v1
	ds_bpermute_b32 v8, v6, v2
	;; [unrolled: 1-line block ×4, first 2 shown]
	s_waitcnt lgkmcnt(3)
	v_cmp_gt_f32_e32 vcc, v1, v7
	v_cndmask_b32_e32 v1, v1, v7, vcc
	s_waitcnt lgkmcnt(2)
	v_cmp_gt_f32_e32 vcc, v2, v8
	v_cndmask_b32_e32 v2, v2, v8, vcc
	s_waitcnt lgkmcnt(1)
	v_cmp_lt_f32_e32 vcc, v3, v9
	v_cndmask_b32_e32 v3, v3, v9, vcc
	s_waitcnt lgkmcnt(0)
	v_cmp_lt_f32_e32 vcc, v4, v6
	v_cndmask_b32_e32 v4, v4, v6, vcc
.LBB15_150:
	s_or_b64 exec, exec, s[2:3]
	s_branch .LBB15_177
.LBB15_151:
                                        ; implicit-def: $vgpr8
                                        ; implicit-def: $sgpr6_sgpr7
.LBB15_152:
	s_and_saveexec_b64 s[0:1], s[8:9]
	s_cbranch_execz .LBB15_154
.LBB15_153:
	s_load_dwordx2 s[0:1], s[4:5], 0x18
	s_lshl_b64 s[2:3], s[6:7], 4
	v_mov_b32_e32 v0, 0
	s_waitcnt lgkmcnt(0)
	s_add_u32 s0, s0, s2
	s_addc_u32 s1, s1, s3
	global_store_dwordx4 v0, v[5:8], s[0:1]
.LBB15_154:
	s_endpgm
.LBB15_155:
                                        ; implicit-def: $vgpr4
	s_cbranch_execz .LBB15_177
; %bb.156:
	s_sub_i32 s10, s22, s0
	v_cmp_gt_u32_e32 vcc, s10, v0
	v_mov_b32_e32 v4, 0
	v_mov_b32_e32 v3, 0
	;; [unrolled: 1-line block ×4, first 2 shown]
	s_and_saveexec_b64 s[2:3], vcc
	s_cbranch_execz .LBB15_158
; %bb.157:
	s_lshl_b64 s[0:1], s[0:1], 4
	s_add_u32 s0, s20, s0
	s_addc_u32 s1, s21, s1
	v_lshlrev_b32_e32 v1, 4, v0
	global_load_dwordx4 v[1:4], v1, s[0:1]
.LBB15_158:
	s_or_b64 exec, exec, s[2:3]
	v_mbcnt_hi_u32_b32 v5, -1, v5
	s_waitcnt lgkmcnt(0)
	v_and_b32_e32 v6, 63, v5
	v_cmp_ne_u32_e32 vcc, 63, v6
	v_addc_co_u32_e32 v7, vcc, 0, v5, vcc
	v_lshlrev_b32_e32 v7, 2, v7
	s_waitcnt vmcnt(0)
	ds_bpermute_b32 v11, v7, v1
	ds_bpermute_b32 v10, v7, v2
	;; [unrolled: 1-line block ×4, first 2 shown]
	s_min_u32 s2, s10, 0x80
	v_and_b32_e32 v7, 64, v0
	v_sub_u32_e64 v7, s2, v7 clamp
	v_add_u32_e32 v12, 1, v6
	v_cmp_lt_u32_e32 vcc, v12, v7
	s_and_saveexec_b64 s[0:1], vcc
	s_cbranch_execz .LBB15_160
; %bb.159:
	s_waitcnt lgkmcnt(3)
	v_cmp_gt_f32_e32 vcc, v1, v11
	v_cndmask_b32_e32 v1, v1, v11, vcc
	s_waitcnt lgkmcnt(2)
	v_cmp_gt_f32_e32 vcc, v2, v10
	v_cndmask_b32_e32 v2, v2, v10, vcc
	s_waitcnt lgkmcnt(1)
	v_cmp_lt_f32_e32 vcc, v3, v9
	v_cndmask_b32_e32 v3, v3, v9, vcc
	s_waitcnt lgkmcnt(0)
	v_cmp_lt_f32_e32 vcc, v4, v8
	v_cndmask_b32_e32 v4, v4, v8, vcc
.LBB15_160:
	s_or_b64 exec, exec, s[0:1]
	v_cmp_gt_u32_e32 vcc, 62, v6
	s_waitcnt lgkmcnt(0)
	v_cndmask_b32_e64 v8, 0, 2, vcc
	v_add_lshl_u32 v8, v8, v5, 2
	ds_bpermute_b32 v11, v8, v1
	ds_bpermute_b32 v10, v8, v2
	ds_bpermute_b32 v9, v8, v3
	ds_bpermute_b32 v8, v8, v4
	v_add_u32_e32 v12, 2, v6
	v_cmp_lt_u32_e32 vcc, v12, v7
	s_and_saveexec_b64 s[0:1], vcc
	s_cbranch_execz .LBB15_162
; %bb.161:
	s_waitcnt lgkmcnt(3)
	v_cmp_gt_f32_e32 vcc, v1, v11
	v_cndmask_b32_e32 v1, v1, v11, vcc
	s_waitcnt lgkmcnt(2)
	v_cmp_gt_f32_e32 vcc, v2, v10
	v_cndmask_b32_e32 v2, v2, v10, vcc
	s_waitcnt lgkmcnt(1)
	v_cmp_lt_f32_e32 vcc, v3, v9
	v_cndmask_b32_e32 v3, v3, v9, vcc
	s_waitcnt lgkmcnt(0)
	v_cmp_lt_f32_e32 vcc, v4, v8
	v_cndmask_b32_e32 v4, v4, v8, vcc
.LBB15_162:
	s_or_b64 exec, exec, s[0:1]
	v_cmp_gt_u32_e32 vcc, 60, v6
	s_waitcnt lgkmcnt(0)
	v_cndmask_b32_e64 v8, 0, 4, vcc
	v_add_lshl_u32 v8, v8, v5, 2
	ds_bpermute_b32 v11, v8, v1
	ds_bpermute_b32 v10, v8, v2
	ds_bpermute_b32 v9, v8, v3
	ds_bpermute_b32 v8, v8, v4
	;; [unrolled: 27-line block ×4, first 2 shown]
	v_add_u32_e32 v12, 16, v6
	v_cmp_lt_u32_e32 vcc, v12, v7
	s_and_saveexec_b64 s[0:1], vcc
	s_cbranch_execz .LBB15_168
; %bb.167:
	s_waitcnt lgkmcnt(3)
	v_cmp_gt_f32_e32 vcc, v1, v11
	v_cndmask_b32_e32 v1, v1, v11, vcc
	s_waitcnt lgkmcnt(2)
	v_cmp_gt_f32_e32 vcc, v2, v10
	v_cndmask_b32_e32 v2, v2, v10, vcc
	s_waitcnt lgkmcnt(1)
	v_cmp_lt_f32_e32 vcc, v3, v9
	v_cndmask_b32_e32 v3, v3, v9, vcc
	s_waitcnt lgkmcnt(0)
	v_cmp_lt_f32_e32 vcc, v4, v8
	v_cndmask_b32_e32 v4, v4, v8, vcc
.LBB15_168:
	s_or_b64 exec, exec, s[0:1]
	s_waitcnt lgkmcnt(0)
	v_lshlrev_b32_e32 v8, 2, v5
	v_or_b32_e32 v9, 0x80, v8
	ds_bpermute_b32 v12, v9, v1
	ds_bpermute_b32 v11, v9, v2
	;; [unrolled: 1-line block ×4, first 2 shown]
	v_add_u32_e32 v6, 32, v6
	v_cmp_lt_u32_e32 vcc, v6, v7
	s_and_saveexec_b64 s[0:1], vcc
	s_cbranch_execz .LBB15_170
; %bb.169:
	s_waitcnt lgkmcnt(3)
	v_cmp_gt_f32_e32 vcc, v1, v12
	v_cndmask_b32_e32 v1, v1, v12, vcc
	s_waitcnt lgkmcnt(2)
	v_cmp_gt_f32_e32 vcc, v2, v11
	v_cndmask_b32_e32 v2, v2, v11, vcc
	s_waitcnt lgkmcnt(1)
	v_cmp_lt_f32_e32 vcc, v3, v10
	v_cndmask_b32_e32 v3, v3, v10, vcc
	s_waitcnt lgkmcnt(0)
	v_cmp_lt_f32_e32 vcc, v4, v9
	v_cndmask_b32_e32 v4, v4, v9, vcc
.LBB15_170:
	s_or_b64 exec, exec, s[0:1]
	v_cmp_eq_u32_e32 vcc, 0, v5
	s_and_saveexec_b64 s[0:1], vcc
; %bb.171:
	v_lshrrev_b32_e32 v6, 2, v0
	v_and_b32_e32 v6, 16, v6
	ds_write2_b64 v6, v[1:2], v[3:4] offset1:1
; %bb.172:
	s_or_b64 exec, exec, s[0:1]
	v_cmp_gt_u32_e32 vcc, 2, v0
	s_waitcnt lgkmcnt(0)
	s_barrier
	s_and_saveexec_b64 s[0:1], vcc
	s_cbranch_execz .LBB15_176
; %bb.173:
	v_lshlrev_b32_e32 v1, 4, v5
	ds_read2_b64 v[1:4], v1 offset1:1
	v_or_b32_e32 v6, 4, v8
	s_add_i32 s2, s2, 63
	v_and_b32_e32 v5, 1, v5
	s_lshr_b32 s2, s2, 6
	s_waitcnt lgkmcnt(0)
	ds_bpermute_b32 v9, v6, v1
	ds_bpermute_b32 v8, v6, v2
	;; [unrolled: 1-line block ×4, first 2 shown]
	v_add_u32_e32 v5, 1, v5
	v_cmp_gt_u32_e32 vcc, s2, v5
	s_and_saveexec_b64 s[2:3], vcc
	s_cbranch_execz .LBB15_175
; %bb.174:
	s_waitcnt lgkmcnt(3)
	v_cmp_gt_f32_e32 vcc, v1, v9
	v_cndmask_b32_e32 v1, v1, v9, vcc
	s_waitcnt lgkmcnt(2)
	v_cmp_gt_f32_e32 vcc, v2, v8
	v_cndmask_b32_e32 v2, v2, v8, vcc
	s_waitcnt lgkmcnt(1)
	v_cmp_lt_f32_e32 vcc, v3, v7
	v_cndmask_b32_e32 v3, v3, v7, vcc
	s_waitcnt lgkmcnt(0)
	v_cmp_lt_f32_e32 vcc, v4, v6
	v_cndmask_b32_e32 v4, v4, v6, vcc
.LBB15_175:
	s_or_b64 exec, exec, s[2:3]
.LBB15_176:
	s_or_b64 exec, exec, s[0:1]
.LBB15_177:
	v_cmp_eq_u32_e32 vcc, 0, v0
                                        ; implicit-def: $vgpr8
	s_and_saveexec_b64 s[0:1], vcc
	s_cbranch_execz .LBB15_181
; %bb.178:
	s_cmp_eq_u64 s[22:23], 0
	s_waitcnt lgkmcnt(2)
	v_mov_b32_e32 v8, s19
	s_waitcnt lgkmcnt(1)
	v_mov_b32_e32 v7, s18
	;; [unrolled: 2-line block ×3, first 2 shown]
	v_mov_b32_e32 v5, s16
	s_cbranch_scc1 .LBB15_180
; %bb.179:
	v_mov_b32_e32 v0, s16
	v_cmp_gt_f32_e32 vcc, s16, v1
	v_cndmask_b32_e32 v5, v0, v1, vcc
	v_mov_b32_e32 v0, s17
	v_cmp_gt_f32_e32 vcc, s17, v2
	v_cndmask_b32_e32 v6, v0, v2, vcc
	v_mov_b32_e32 v0, s18
	v_cmp_lt_f32_e32 vcc, s18, v3
	v_cndmask_b32_e32 v7, v0, v3, vcc
	v_mov_b32_e32 v0, s19
	v_cmp_lt_f32_e32 vcc, s19, v4
	v_cndmask_b32_e32 v8, v0, v4, vcc
.LBB15_180:
	s_or_b64 s[8:9], s[8:9], exec
.LBB15_181:
	s_or_b64 exec, exec, s[0:1]
	s_and_saveexec_b64 s[0:1], s[8:9]
	s_cbranch_execnz .LBB15_153
	s_branch .LBB15_154
.LBB15_182:
	v_lshlrev_b32_e32 v17, 4, v33
	global_load_dwordx4 v[17:20], v17, s[26:27]
	s_or_b64 exec, exec, s[28:29]
	s_and_saveexec_b64 s[26:27], vcc
	s_cbranch_execz .LBB15_37
.LBB15_183:
	s_waitcnt vmcnt(0)
	v_cmp_lt_f32_e32 vcc, v5, v1
	v_cndmask_b32_e32 v1, v1, v5, vcc
	v_cmp_lt_f32_e32 vcc, v6, v2
	v_cndmask_b32_e32 v2, v2, v6, vcc
	;; [unrolled: 2-line block ×4, first 2 shown]
	s_or_b64 exec, exec, s[26:27]
	s_and_saveexec_b64 s[26:27], s[0:1]
	s_cbranch_execz .LBB15_38
.LBB15_184:
	s_waitcnt vmcnt(0)
	v_cmp_lt_f32_e32 vcc, v21, v1
	v_cndmask_b32_e32 v1, v1, v21, vcc
	v_cmp_lt_f32_e32 vcc, v22, v2
	v_cndmask_b32_e32 v2, v2, v22, vcc
	v_cmp_lt_f32_e32 vcc, v3, v23
	v_cndmask_b32_e32 v3, v3, v23, vcc
	v_cmp_lt_f32_e32 vcc, v4, v24
	v_cndmask_b32_e32 v4, v4, v24, vcc
	s_or_b64 exec, exec, s[26:27]
	s_and_saveexec_b64 s[0:1], s[2:3]
	s_cbranch_execz .LBB15_39
.LBB15_185:
	s_waitcnt vmcnt(0)
	v_cmp_lt_f32_e32 vcc, v9, v1
	v_cndmask_b32_e32 v1, v1, v9, vcc
	v_cmp_lt_f32_e32 vcc, v10, v2
	v_cndmask_b32_e32 v2, v2, v10, vcc
	;; [unrolled: 2-line block ×4, first 2 shown]
	s_or_b64 exec, exec, s[0:1]
	s_and_saveexec_b64 s[0:1], s[8:9]
	s_cbranch_execz .LBB15_40
.LBB15_186:
	s_waitcnt vmcnt(0)
	v_cmp_lt_f32_e32 vcc, v25, v1
	v_cndmask_b32_e32 v1, v1, v25, vcc
	v_cmp_lt_f32_e32 vcc, v26, v2
	v_cndmask_b32_e32 v2, v2, v26, vcc
	;; [unrolled: 2-line block ×4, first 2 shown]
	s_or_b64 exec, exec, s[0:1]
	s_and_saveexec_b64 s[0:1], s[10:11]
	s_cbranch_execz .LBB15_41
.LBB15_187:
	s_waitcnt vmcnt(0)
	v_cmp_lt_f32_e32 vcc, v13, v1
	v_cndmask_b32_e32 v1, v1, v13, vcc
	v_cmp_lt_f32_e32 vcc, v14, v2
	v_cndmask_b32_e32 v2, v2, v14, vcc
	;; [unrolled: 2-line block ×4, first 2 shown]
	s_or_b64 exec, exec, s[0:1]
	s_and_saveexec_b64 s[0:1], s[12:13]
	s_cbranch_execz .LBB15_42
.LBB15_188:
	s_waitcnt vmcnt(0)
	v_cmp_lt_f32_e32 vcc, v29, v1
	v_cndmask_b32_e32 v1, v1, v29, vcc
	v_cmp_lt_f32_e32 vcc, v30, v2
	v_cndmask_b32_e32 v2, v2, v30, vcc
	;; [unrolled: 2-line block ×4, first 2 shown]
	s_or_b64 exec, exec, s[0:1]
	s_and_saveexec_b64 s[0:1], s[14:15]
	s_cbranch_execnz .LBB15_43
	s_branch .LBB15_44
.LBB15_189:
	v_lshlrev_b32_e32 v9, 4, v17
	global_load_dwordx4 v[9:12], v9, s[10:11]
	s_or_b64 exec, exec, s[12:13]
	s_and_saveexec_b64 s[10:11], vcc
	s_cbranch_execz .LBB15_78
.LBB15_190:
	s_waitcnt vmcnt(0)
	v_cmp_lt_f32_e32 vcc, v5, v1
	v_cndmask_b32_e32 v1, v1, v5, vcc
	v_cmp_lt_f32_e32 vcc, v6, v2
	v_cndmask_b32_e32 v2, v2, v6, vcc
	;; [unrolled: 2-line block ×4, first 2 shown]
	s_or_b64 exec, exec, s[10:11]
	s_and_saveexec_b64 s[10:11], s[0:1]
	s_cbranch_execz .LBB15_79
.LBB15_191:
	s_waitcnt vmcnt(0)
	v_cmp_lt_f32_e32 vcc, v13, v1
	v_cndmask_b32_e32 v1, v1, v13, vcc
	v_cmp_lt_f32_e32 vcc, v14, v2
	v_cndmask_b32_e32 v2, v2, v14, vcc
	;; [unrolled: 2-line block ×4, first 2 shown]
	s_or_b64 exec, exec, s[10:11]
	s_and_saveexec_b64 s[0:1], s[2:3]
	s_cbranch_execnz .LBB15_80
	s_branch .LBB15_81
	.section	.rodata,"a",@progbits
	.p2align	6, 0x0
	.amdhsa_kernel _ZN7rocprim17ROCPRIM_400000_NS6detail17trampoline_kernelINS0_14default_configENS1_22reduce_config_selectorI4bboxEEZNS1_11reduce_implILb1ES3_PS5_S8_S5_14bbox_reductionEE10hipError_tPvRmT1_T2_T3_mT4_P12ihipStream_tbEUlT_E1_NS1_11comp_targetILNS1_3genE2ELNS1_11target_archE906ELNS1_3gpuE6ELNS1_3repE0EEENS1_30default_config_static_selectorELNS0_4arch9wavefront6targetE1EEEvSD_
		.amdhsa_group_segment_fixed_size 160
		.amdhsa_private_segment_fixed_size 0
		.amdhsa_kernarg_size 56
		.amdhsa_user_sgpr_count 6
		.amdhsa_user_sgpr_private_segment_buffer 1
		.amdhsa_user_sgpr_dispatch_ptr 0
		.amdhsa_user_sgpr_queue_ptr 0
		.amdhsa_user_sgpr_kernarg_segment_ptr 1
		.amdhsa_user_sgpr_dispatch_id 0
		.amdhsa_user_sgpr_flat_scratch_init 0
		.amdhsa_user_sgpr_private_segment_size 0
		.amdhsa_uses_dynamic_stack 0
		.amdhsa_system_sgpr_private_segment_wavefront_offset 0
		.amdhsa_system_sgpr_workgroup_id_x 1
		.amdhsa_system_sgpr_workgroup_id_y 0
		.amdhsa_system_sgpr_workgroup_id_z 0
		.amdhsa_system_sgpr_workgroup_info 0
		.amdhsa_system_vgpr_workitem_id 0
		.amdhsa_next_free_vgpr 34
		.amdhsa_next_free_sgpr 32
		.amdhsa_reserve_vcc 1
		.amdhsa_reserve_flat_scratch 0
		.amdhsa_float_round_mode_32 0
		.amdhsa_float_round_mode_16_64 0
		.amdhsa_float_denorm_mode_32 3
		.amdhsa_float_denorm_mode_16_64 3
		.amdhsa_dx10_clamp 1
		.amdhsa_ieee_mode 1
		.amdhsa_fp16_overflow 0
		.amdhsa_exception_fp_ieee_invalid_op 0
		.amdhsa_exception_fp_denorm_src 0
		.amdhsa_exception_fp_ieee_div_zero 0
		.amdhsa_exception_fp_ieee_overflow 0
		.amdhsa_exception_fp_ieee_underflow 0
		.amdhsa_exception_fp_ieee_inexact 0
		.amdhsa_exception_int_div_zero 0
	.end_amdhsa_kernel
	.section	.text._ZN7rocprim17ROCPRIM_400000_NS6detail17trampoline_kernelINS0_14default_configENS1_22reduce_config_selectorI4bboxEEZNS1_11reduce_implILb1ES3_PS5_S8_S5_14bbox_reductionEE10hipError_tPvRmT1_T2_T3_mT4_P12ihipStream_tbEUlT_E1_NS1_11comp_targetILNS1_3genE2ELNS1_11target_archE906ELNS1_3gpuE6ELNS1_3repE0EEENS1_30default_config_static_selectorELNS0_4arch9wavefront6targetE1EEEvSD_,"axG",@progbits,_ZN7rocprim17ROCPRIM_400000_NS6detail17trampoline_kernelINS0_14default_configENS1_22reduce_config_selectorI4bboxEEZNS1_11reduce_implILb1ES3_PS5_S8_S5_14bbox_reductionEE10hipError_tPvRmT1_T2_T3_mT4_P12ihipStream_tbEUlT_E1_NS1_11comp_targetILNS1_3genE2ELNS1_11target_archE906ELNS1_3gpuE6ELNS1_3repE0EEENS1_30default_config_static_selectorELNS0_4arch9wavefront6targetE1EEEvSD_,comdat
.Lfunc_end15:
	.size	_ZN7rocprim17ROCPRIM_400000_NS6detail17trampoline_kernelINS0_14default_configENS1_22reduce_config_selectorI4bboxEEZNS1_11reduce_implILb1ES3_PS5_S8_S5_14bbox_reductionEE10hipError_tPvRmT1_T2_T3_mT4_P12ihipStream_tbEUlT_E1_NS1_11comp_targetILNS1_3genE2ELNS1_11target_archE906ELNS1_3gpuE6ELNS1_3repE0EEENS1_30default_config_static_selectorELNS0_4arch9wavefront6targetE1EEEvSD_, .Lfunc_end15-_ZN7rocprim17ROCPRIM_400000_NS6detail17trampoline_kernelINS0_14default_configENS1_22reduce_config_selectorI4bboxEEZNS1_11reduce_implILb1ES3_PS5_S8_S5_14bbox_reductionEE10hipError_tPvRmT1_T2_T3_mT4_P12ihipStream_tbEUlT_E1_NS1_11comp_targetILNS1_3genE2ELNS1_11target_archE906ELNS1_3gpuE6ELNS1_3repE0EEENS1_30default_config_static_selectorELNS0_4arch9wavefront6targetE1EEEvSD_
                                        ; -- End function
	.set _ZN7rocprim17ROCPRIM_400000_NS6detail17trampoline_kernelINS0_14default_configENS1_22reduce_config_selectorI4bboxEEZNS1_11reduce_implILb1ES3_PS5_S8_S5_14bbox_reductionEE10hipError_tPvRmT1_T2_T3_mT4_P12ihipStream_tbEUlT_E1_NS1_11comp_targetILNS1_3genE2ELNS1_11target_archE906ELNS1_3gpuE6ELNS1_3repE0EEENS1_30default_config_static_selectorELNS0_4arch9wavefront6targetE1EEEvSD_.num_vgpr, 34
	.set _ZN7rocprim17ROCPRIM_400000_NS6detail17trampoline_kernelINS0_14default_configENS1_22reduce_config_selectorI4bboxEEZNS1_11reduce_implILb1ES3_PS5_S8_S5_14bbox_reductionEE10hipError_tPvRmT1_T2_T3_mT4_P12ihipStream_tbEUlT_E1_NS1_11comp_targetILNS1_3genE2ELNS1_11target_archE906ELNS1_3gpuE6ELNS1_3repE0EEENS1_30default_config_static_selectorELNS0_4arch9wavefront6targetE1EEEvSD_.num_agpr, 0
	.set _ZN7rocprim17ROCPRIM_400000_NS6detail17trampoline_kernelINS0_14default_configENS1_22reduce_config_selectorI4bboxEEZNS1_11reduce_implILb1ES3_PS5_S8_S5_14bbox_reductionEE10hipError_tPvRmT1_T2_T3_mT4_P12ihipStream_tbEUlT_E1_NS1_11comp_targetILNS1_3genE2ELNS1_11target_archE906ELNS1_3gpuE6ELNS1_3repE0EEENS1_30default_config_static_selectorELNS0_4arch9wavefront6targetE1EEEvSD_.numbered_sgpr, 32
	.set _ZN7rocprim17ROCPRIM_400000_NS6detail17trampoline_kernelINS0_14default_configENS1_22reduce_config_selectorI4bboxEEZNS1_11reduce_implILb1ES3_PS5_S8_S5_14bbox_reductionEE10hipError_tPvRmT1_T2_T3_mT4_P12ihipStream_tbEUlT_E1_NS1_11comp_targetILNS1_3genE2ELNS1_11target_archE906ELNS1_3gpuE6ELNS1_3repE0EEENS1_30default_config_static_selectorELNS0_4arch9wavefront6targetE1EEEvSD_.num_named_barrier, 0
	.set _ZN7rocprim17ROCPRIM_400000_NS6detail17trampoline_kernelINS0_14default_configENS1_22reduce_config_selectorI4bboxEEZNS1_11reduce_implILb1ES3_PS5_S8_S5_14bbox_reductionEE10hipError_tPvRmT1_T2_T3_mT4_P12ihipStream_tbEUlT_E1_NS1_11comp_targetILNS1_3genE2ELNS1_11target_archE906ELNS1_3gpuE6ELNS1_3repE0EEENS1_30default_config_static_selectorELNS0_4arch9wavefront6targetE1EEEvSD_.private_seg_size, 0
	.set _ZN7rocprim17ROCPRIM_400000_NS6detail17trampoline_kernelINS0_14default_configENS1_22reduce_config_selectorI4bboxEEZNS1_11reduce_implILb1ES3_PS5_S8_S5_14bbox_reductionEE10hipError_tPvRmT1_T2_T3_mT4_P12ihipStream_tbEUlT_E1_NS1_11comp_targetILNS1_3genE2ELNS1_11target_archE906ELNS1_3gpuE6ELNS1_3repE0EEENS1_30default_config_static_selectorELNS0_4arch9wavefront6targetE1EEEvSD_.uses_vcc, 1
	.set _ZN7rocprim17ROCPRIM_400000_NS6detail17trampoline_kernelINS0_14default_configENS1_22reduce_config_selectorI4bboxEEZNS1_11reduce_implILb1ES3_PS5_S8_S5_14bbox_reductionEE10hipError_tPvRmT1_T2_T3_mT4_P12ihipStream_tbEUlT_E1_NS1_11comp_targetILNS1_3genE2ELNS1_11target_archE906ELNS1_3gpuE6ELNS1_3repE0EEENS1_30default_config_static_selectorELNS0_4arch9wavefront6targetE1EEEvSD_.uses_flat_scratch, 0
	.set _ZN7rocprim17ROCPRIM_400000_NS6detail17trampoline_kernelINS0_14default_configENS1_22reduce_config_selectorI4bboxEEZNS1_11reduce_implILb1ES3_PS5_S8_S5_14bbox_reductionEE10hipError_tPvRmT1_T2_T3_mT4_P12ihipStream_tbEUlT_E1_NS1_11comp_targetILNS1_3genE2ELNS1_11target_archE906ELNS1_3gpuE6ELNS1_3repE0EEENS1_30default_config_static_selectorELNS0_4arch9wavefront6targetE1EEEvSD_.has_dyn_sized_stack, 0
	.set _ZN7rocprim17ROCPRIM_400000_NS6detail17trampoline_kernelINS0_14default_configENS1_22reduce_config_selectorI4bboxEEZNS1_11reduce_implILb1ES3_PS5_S8_S5_14bbox_reductionEE10hipError_tPvRmT1_T2_T3_mT4_P12ihipStream_tbEUlT_E1_NS1_11comp_targetILNS1_3genE2ELNS1_11target_archE906ELNS1_3gpuE6ELNS1_3repE0EEENS1_30default_config_static_selectorELNS0_4arch9wavefront6targetE1EEEvSD_.has_recursion, 0
	.set _ZN7rocprim17ROCPRIM_400000_NS6detail17trampoline_kernelINS0_14default_configENS1_22reduce_config_selectorI4bboxEEZNS1_11reduce_implILb1ES3_PS5_S8_S5_14bbox_reductionEE10hipError_tPvRmT1_T2_T3_mT4_P12ihipStream_tbEUlT_E1_NS1_11comp_targetILNS1_3genE2ELNS1_11target_archE906ELNS1_3gpuE6ELNS1_3repE0EEENS1_30default_config_static_selectorELNS0_4arch9wavefront6targetE1EEEvSD_.has_indirect_call, 0
	.section	.AMDGPU.csdata,"",@progbits
; Kernel info:
; codeLenInByte = 9148
; TotalNumSgprs: 36
; NumVgprs: 34
; ScratchSize: 0
; MemoryBound: 0
; FloatMode: 240
; IeeeMode: 1
; LDSByteSize: 160 bytes/workgroup (compile time only)
; SGPRBlocks: 4
; VGPRBlocks: 8
; NumSGPRsForWavesPerEU: 36
; NumVGPRsForWavesPerEU: 34
; Occupancy: 7
; WaveLimiterHint : 1
; COMPUTE_PGM_RSRC2:SCRATCH_EN: 0
; COMPUTE_PGM_RSRC2:USER_SGPR: 6
; COMPUTE_PGM_RSRC2:TRAP_HANDLER: 0
; COMPUTE_PGM_RSRC2:TGID_X_EN: 1
; COMPUTE_PGM_RSRC2:TGID_Y_EN: 0
; COMPUTE_PGM_RSRC2:TGID_Z_EN: 0
; COMPUTE_PGM_RSRC2:TIDIG_COMP_CNT: 0
	.section	.text._ZN7rocprim17ROCPRIM_400000_NS6detail17trampoline_kernelINS0_14default_configENS1_22reduce_config_selectorI4bboxEEZNS1_11reduce_implILb1ES3_PS5_S8_S5_14bbox_reductionEE10hipError_tPvRmT1_T2_T3_mT4_P12ihipStream_tbEUlT_E1_NS1_11comp_targetILNS1_3genE10ELNS1_11target_archE1201ELNS1_3gpuE5ELNS1_3repE0EEENS1_30default_config_static_selectorELNS0_4arch9wavefront6targetE1EEEvSD_,"axG",@progbits,_ZN7rocprim17ROCPRIM_400000_NS6detail17trampoline_kernelINS0_14default_configENS1_22reduce_config_selectorI4bboxEEZNS1_11reduce_implILb1ES3_PS5_S8_S5_14bbox_reductionEE10hipError_tPvRmT1_T2_T3_mT4_P12ihipStream_tbEUlT_E1_NS1_11comp_targetILNS1_3genE10ELNS1_11target_archE1201ELNS1_3gpuE5ELNS1_3repE0EEENS1_30default_config_static_selectorELNS0_4arch9wavefront6targetE1EEEvSD_,comdat
	.protected	_ZN7rocprim17ROCPRIM_400000_NS6detail17trampoline_kernelINS0_14default_configENS1_22reduce_config_selectorI4bboxEEZNS1_11reduce_implILb1ES3_PS5_S8_S5_14bbox_reductionEE10hipError_tPvRmT1_T2_T3_mT4_P12ihipStream_tbEUlT_E1_NS1_11comp_targetILNS1_3genE10ELNS1_11target_archE1201ELNS1_3gpuE5ELNS1_3repE0EEENS1_30default_config_static_selectorELNS0_4arch9wavefront6targetE1EEEvSD_ ; -- Begin function _ZN7rocprim17ROCPRIM_400000_NS6detail17trampoline_kernelINS0_14default_configENS1_22reduce_config_selectorI4bboxEEZNS1_11reduce_implILb1ES3_PS5_S8_S5_14bbox_reductionEE10hipError_tPvRmT1_T2_T3_mT4_P12ihipStream_tbEUlT_E1_NS1_11comp_targetILNS1_3genE10ELNS1_11target_archE1201ELNS1_3gpuE5ELNS1_3repE0EEENS1_30default_config_static_selectorELNS0_4arch9wavefront6targetE1EEEvSD_
	.globl	_ZN7rocprim17ROCPRIM_400000_NS6detail17trampoline_kernelINS0_14default_configENS1_22reduce_config_selectorI4bboxEEZNS1_11reduce_implILb1ES3_PS5_S8_S5_14bbox_reductionEE10hipError_tPvRmT1_T2_T3_mT4_P12ihipStream_tbEUlT_E1_NS1_11comp_targetILNS1_3genE10ELNS1_11target_archE1201ELNS1_3gpuE5ELNS1_3repE0EEENS1_30default_config_static_selectorELNS0_4arch9wavefront6targetE1EEEvSD_
	.p2align	8
	.type	_ZN7rocprim17ROCPRIM_400000_NS6detail17trampoline_kernelINS0_14default_configENS1_22reduce_config_selectorI4bboxEEZNS1_11reduce_implILb1ES3_PS5_S8_S5_14bbox_reductionEE10hipError_tPvRmT1_T2_T3_mT4_P12ihipStream_tbEUlT_E1_NS1_11comp_targetILNS1_3genE10ELNS1_11target_archE1201ELNS1_3gpuE5ELNS1_3repE0EEENS1_30default_config_static_selectorELNS0_4arch9wavefront6targetE1EEEvSD_,@function
_ZN7rocprim17ROCPRIM_400000_NS6detail17trampoline_kernelINS0_14default_configENS1_22reduce_config_selectorI4bboxEEZNS1_11reduce_implILb1ES3_PS5_S8_S5_14bbox_reductionEE10hipError_tPvRmT1_T2_T3_mT4_P12ihipStream_tbEUlT_E1_NS1_11comp_targetILNS1_3genE10ELNS1_11target_archE1201ELNS1_3gpuE5ELNS1_3repE0EEENS1_30default_config_static_selectorELNS0_4arch9wavefront6targetE1EEEvSD_: ; @_ZN7rocprim17ROCPRIM_400000_NS6detail17trampoline_kernelINS0_14default_configENS1_22reduce_config_selectorI4bboxEEZNS1_11reduce_implILb1ES3_PS5_S8_S5_14bbox_reductionEE10hipError_tPvRmT1_T2_T3_mT4_P12ihipStream_tbEUlT_E1_NS1_11comp_targetILNS1_3genE10ELNS1_11target_archE1201ELNS1_3gpuE5ELNS1_3repE0EEENS1_30default_config_static_selectorELNS0_4arch9wavefront6targetE1EEEvSD_
; %bb.0:
	.section	.rodata,"a",@progbits
	.p2align	6, 0x0
	.amdhsa_kernel _ZN7rocprim17ROCPRIM_400000_NS6detail17trampoline_kernelINS0_14default_configENS1_22reduce_config_selectorI4bboxEEZNS1_11reduce_implILb1ES3_PS5_S8_S5_14bbox_reductionEE10hipError_tPvRmT1_T2_T3_mT4_P12ihipStream_tbEUlT_E1_NS1_11comp_targetILNS1_3genE10ELNS1_11target_archE1201ELNS1_3gpuE5ELNS1_3repE0EEENS1_30default_config_static_selectorELNS0_4arch9wavefront6targetE1EEEvSD_
		.amdhsa_group_segment_fixed_size 0
		.amdhsa_private_segment_fixed_size 0
		.amdhsa_kernarg_size 56
		.amdhsa_user_sgpr_count 6
		.amdhsa_user_sgpr_private_segment_buffer 1
		.amdhsa_user_sgpr_dispatch_ptr 0
		.amdhsa_user_sgpr_queue_ptr 0
		.amdhsa_user_sgpr_kernarg_segment_ptr 1
		.amdhsa_user_sgpr_dispatch_id 0
		.amdhsa_user_sgpr_flat_scratch_init 0
		.amdhsa_user_sgpr_private_segment_size 0
		.amdhsa_uses_dynamic_stack 0
		.amdhsa_system_sgpr_private_segment_wavefront_offset 0
		.amdhsa_system_sgpr_workgroup_id_x 1
		.amdhsa_system_sgpr_workgroup_id_y 0
		.amdhsa_system_sgpr_workgroup_id_z 0
		.amdhsa_system_sgpr_workgroup_info 0
		.amdhsa_system_vgpr_workitem_id 0
		.amdhsa_next_free_vgpr 1
		.amdhsa_next_free_sgpr 0
		.amdhsa_reserve_vcc 0
		.amdhsa_reserve_flat_scratch 0
		.amdhsa_float_round_mode_32 0
		.amdhsa_float_round_mode_16_64 0
		.amdhsa_float_denorm_mode_32 3
		.amdhsa_float_denorm_mode_16_64 3
		.amdhsa_dx10_clamp 1
		.amdhsa_ieee_mode 1
		.amdhsa_fp16_overflow 0
		.amdhsa_exception_fp_ieee_invalid_op 0
		.amdhsa_exception_fp_denorm_src 0
		.amdhsa_exception_fp_ieee_div_zero 0
		.amdhsa_exception_fp_ieee_overflow 0
		.amdhsa_exception_fp_ieee_underflow 0
		.amdhsa_exception_fp_ieee_inexact 0
		.amdhsa_exception_int_div_zero 0
	.end_amdhsa_kernel
	.section	.text._ZN7rocprim17ROCPRIM_400000_NS6detail17trampoline_kernelINS0_14default_configENS1_22reduce_config_selectorI4bboxEEZNS1_11reduce_implILb1ES3_PS5_S8_S5_14bbox_reductionEE10hipError_tPvRmT1_T2_T3_mT4_P12ihipStream_tbEUlT_E1_NS1_11comp_targetILNS1_3genE10ELNS1_11target_archE1201ELNS1_3gpuE5ELNS1_3repE0EEENS1_30default_config_static_selectorELNS0_4arch9wavefront6targetE1EEEvSD_,"axG",@progbits,_ZN7rocprim17ROCPRIM_400000_NS6detail17trampoline_kernelINS0_14default_configENS1_22reduce_config_selectorI4bboxEEZNS1_11reduce_implILb1ES3_PS5_S8_S5_14bbox_reductionEE10hipError_tPvRmT1_T2_T3_mT4_P12ihipStream_tbEUlT_E1_NS1_11comp_targetILNS1_3genE10ELNS1_11target_archE1201ELNS1_3gpuE5ELNS1_3repE0EEENS1_30default_config_static_selectorELNS0_4arch9wavefront6targetE1EEEvSD_,comdat
.Lfunc_end16:
	.size	_ZN7rocprim17ROCPRIM_400000_NS6detail17trampoline_kernelINS0_14default_configENS1_22reduce_config_selectorI4bboxEEZNS1_11reduce_implILb1ES3_PS5_S8_S5_14bbox_reductionEE10hipError_tPvRmT1_T2_T3_mT4_P12ihipStream_tbEUlT_E1_NS1_11comp_targetILNS1_3genE10ELNS1_11target_archE1201ELNS1_3gpuE5ELNS1_3repE0EEENS1_30default_config_static_selectorELNS0_4arch9wavefront6targetE1EEEvSD_, .Lfunc_end16-_ZN7rocprim17ROCPRIM_400000_NS6detail17trampoline_kernelINS0_14default_configENS1_22reduce_config_selectorI4bboxEEZNS1_11reduce_implILb1ES3_PS5_S8_S5_14bbox_reductionEE10hipError_tPvRmT1_T2_T3_mT4_P12ihipStream_tbEUlT_E1_NS1_11comp_targetILNS1_3genE10ELNS1_11target_archE1201ELNS1_3gpuE5ELNS1_3repE0EEENS1_30default_config_static_selectorELNS0_4arch9wavefront6targetE1EEEvSD_
                                        ; -- End function
	.set _ZN7rocprim17ROCPRIM_400000_NS6detail17trampoline_kernelINS0_14default_configENS1_22reduce_config_selectorI4bboxEEZNS1_11reduce_implILb1ES3_PS5_S8_S5_14bbox_reductionEE10hipError_tPvRmT1_T2_T3_mT4_P12ihipStream_tbEUlT_E1_NS1_11comp_targetILNS1_3genE10ELNS1_11target_archE1201ELNS1_3gpuE5ELNS1_3repE0EEENS1_30default_config_static_selectorELNS0_4arch9wavefront6targetE1EEEvSD_.num_vgpr, 0
	.set _ZN7rocprim17ROCPRIM_400000_NS6detail17trampoline_kernelINS0_14default_configENS1_22reduce_config_selectorI4bboxEEZNS1_11reduce_implILb1ES3_PS5_S8_S5_14bbox_reductionEE10hipError_tPvRmT1_T2_T3_mT4_P12ihipStream_tbEUlT_E1_NS1_11comp_targetILNS1_3genE10ELNS1_11target_archE1201ELNS1_3gpuE5ELNS1_3repE0EEENS1_30default_config_static_selectorELNS0_4arch9wavefront6targetE1EEEvSD_.num_agpr, 0
	.set _ZN7rocprim17ROCPRIM_400000_NS6detail17trampoline_kernelINS0_14default_configENS1_22reduce_config_selectorI4bboxEEZNS1_11reduce_implILb1ES3_PS5_S8_S5_14bbox_reductionEE10hipError_tPvRmT1_T2_T3_mT4_P12ihipStream_tbEUlT_E1_NS1_11comp_targetILNS1_3genE10ELNS1_11target_archE1201ELNS1_3gpuE5ELNS1_3repE0EEENS1_30default_config_static_selectorELNS0_4arch9wavefront6targetE1EEEvSD_.numbered_sgpr, 0
	.set _ZN7rocprim17ROCPRIM_400000_NS6detail17trampoline_kernelINS0_14default_configENS1_22reduce_config_selectorI4bboxEEZNS1_11reduce_implILb1ES3_PS5_S8_S5_14bbox_reductionEE10hipError_tPvRmT1_T2_T3_mT4_P12ihipStream_tbEUlT_E1_NS1_11comp_targetILNS1_3genE10ELNS1_11target_archE1201ELNS1_3gpuE5ELNS1_3repE0EEENS1_30default_config_static_selectorELNS0_4arch9wavefront6targetE1EEEvSD_.num_named_barrier, 0
	.set _ZN7rocprim17ROCPRIM_400000_NS6detail17trampoline_kernelINS0_14default_configENS1_22reduce_config_selectorI4bboxEEZNS1_11reduce_implILb1ES3_PS5_S8_S5_14bbox_reductionEE10hipError_tPvRmT1_T2_T3_mT4_P12ihipStream_tbEUlT_E1_NS1_11comp_targetILNS1_3genE10ELNS1_11target_archE1201ELNS1_3gpuE5ELNS1_3repE0EEENS1_30default_config_static_selectorELNS0_4arch9wavefront6targetE1EEEvSD_.private_seg_size, 0
	.set _ZN7rocprim17ROCPRIM_400000_NS6detail17trampoline_kernelINS0_14default_configENS1_22reduce_config_selectorI4bboxEEZNS1_11reduce_implILb1ES3_PS5_S8_S5_14bbox_reductionEE10hipError_tPvRmT1_T2_T3_mT4_P12ihipStream_tbEUlT_E1_NS1_11comp_targetILNS1_3genE10ELNS1_11target_archE1201ELNS1_3gpuE5ELNS1_3repE0EEENS1_30default_config_static_selectorELNS0_4arch9wavefront6targetE1EEEvSD_.uses_vcc, 0
	.set _ZN7rocprim17ROCPRIM_400000_NS6detail17trampoline_kernelINS0_14default_configENS1_22reduce_config_selectorI4bboxEEZNS1_11reduce_implILb1ES3_PS5_S8_S5_14bbox_reductionEE10hipError_tPvRmT1_T2_T3_mT4_P12ihipStream_tbEUlT_E1_NS1_11comp_targetILNS1_3genE10ELNS1_11target_archE1201ELNS1_3gpuE5ELNS1_3repE0EEENS1_30default_config_static_selectorELNS0_4arch9wavefront6targetE1EEEvSD_.uses_flat_scratch, 0
	.set _ZN7rocprim17ROCPRIM_400000_NS6detail17trampoline_kernelINS0_14default_configENS1_22reduce_config_selectorI4bboxEEZNS1_11reduce_implILb1ES3_PS5_S8_S5_14bbox_reductionEE10hipError_tPvRmT1_T2_T3_mT4_P12ihipStream_tbEUlT_E1_NS1_11comp_targetILNS1_3genE10ELNS1_11target_archE1201ELNS1_3gpuE5ELNS1_3repE0EEENS1_30default_config_static_selectorELNS0_4arch9wavefront6targetE1EEEvSD_.has_dyn_sized_stack, 0
	.set _ZN7rocprim17ROCPRIM_400000_NS6detail17trampoline_kernelINS0_14default_configENS1_22reduce_config_selectorI4bboxEEZNS1_11reduce_implILb1ES3_PS5_S8_S5_14bbox_reductionEE10hipError_tPvRmT1_T2_T3_mT4_P12ihipStream_tbEUlT_E1_NS1_11comp_targetILNS1_3genE10ELNS1_11target_archE1201ELNS1_3gpuE5ELNS1_3repE0EEENS1_30default_config_static_selectorELNS0_4arch9wavefront6targetE1EEEvSD_.has_recursion, 0
	.set _ZN7rocprim17ROCPRIM_400000_NS6detail17trampoline_kernelINS0_14default_configENS1_22reduce_config_selectorI4bboxEEZNS1_11reduce_implILb1ES3_PS5_S8_S5_14bbox_reductionEE10hipError_tPvRmT1_T2_T3_mT4_P12ihipStream_tbEUlT_E1_NS1_11comp_targetILNS1_3genE10ELNS1_11target_archE1201ELNS1_3gpuE5ELNS1_3repE0EEENS1_30default_config_static_selectorELNS0_4arch9wavefront6targetE1EEEvSD_.has_indirect_call, 0
	.section	.AMDGPU.csdata,"",@progbits
; Kernel info:
; codeLenInByte = 0
; TotalNumSgprs: 4
; NumVgprs: 0
; ScratchSize: 0
; MemoryBound: 0
; FloatMode: 240
; IeeeMode: 1
; LDSByteSize: 0 bytes/workgroup (compile time only)
; SGPRBlocks: 0
; VGPRBlocks: 0
; NumSGPRsForWavesPerEU: 4
; NumVGPRsForWavesPerEU: 1
; Occupancy: 10
; WaveLimiterHint : 0
; COMPUTE_PGM_RSRC2:SCRATCH_EN: 0
; COMPUTE_PGM_RSRC2:USER_SGPR: 6
; COMPUTE_PGM_RSRC2:TRAP_HANDLER: 0
; COMPUTE_PGM_RSRC2:TGID_X_EN: 1
; COMPUTE_PGM_RSRC2:TGID_Y_EN: 0
; COMPUTE_PGM_RSRC2:TGID_Z_EN: 0
; COMPUTE_PGM_RSRC2:TIDIG_COMP_CNT: 0
	.section	.text._ZN7rocprim17ROCPRIM_400000_NS6detail17trampoline_kernelINS0_14default_configENS1_22reduce_config_selectorI4bboxEEZNS1_11reduce_implILb1ES3_PS5_S8_S5_14bbox_reductionEE10hipError_tPvRmT1_T2_T3_mT4_P12ihipStream_tbEUlT_E1_NS1_11comp_targetILNS1_3genE10ELNS1_11target_archE1200ELNS1_3gpuE4ELNS1_3repE0EEENS1_30default_config_static_selectorELNS0_4arch9wavefront6targetE1EEEvSD_,"axG",@progbits,_ZN7rocprim17ROCPRIM_400000_NS6detail17trampoline_kernelINS0_14default_configENS1_22reduce_config_selectorI4bboxEEZNS1_11reduce_implILb1ES3_PS5_S8_S5_14bbox_reductionEE10hipError_tPvRmT1_T2_T3_mT4_P12ihipStream_tbEUlT_E1_NS1_11comp_targetILNS1_3genE10ELNS1_11target_archE1200ELNS1_3gpuE4ELNS1_3repE0EEENS1_30default_config_static_selectorELNS0_4arch9wavefront6targetE1EEEvSD_,comdat
	.protected	_ZN7rocprim17ROCPRIM_400000_NS6detail17trampoline_kernelINS0_14default_configENS1_22reduce_config_selectorI4bboxEEZNS1_11reduce_implILb1ES3_PS5_S8_S5_14bbox_reductionEE10hipError_tPvRmT1_T2_T3_mT4_P12ihipStream_tbEUlT_E1_NS1_11comp_targetILNS1_3genE10ELNS1_11target_archE1200ELNS1_3gpuE4ELNS1_3repE0EEENS1_30default_config_static_selectorELNS0_4arch9wavefront6targetE1EEEvSD_ ; -- Begin function _ZN7rocprim17ROCPRIM_400000_NS6detail17trampoline_kernelINS0_14default_configENS1_22reduce_config_selectorI4bboxEEZNS1_11reduce_implILb1ES3_PS5_S8_S5_14bbox_reductionEE10hipError_tPvRmT1_T2_T3_mT4_P12ihipStream_tbEUlT_E1_NS1_11comp_targetILNS1_3genE10ELNS1_11target_archE1200ELNS1_3gpuE4ELNS1_3repE0EEENS1_30default_config_static_selectorELNS0_4arch9wavefront6targetE1EEEvSD_
	.globl	_ZN7rocprim17ROCPRIM_400000_NS6detail17trampoline_kernelINS0_14default_configENS1_22reduce_config_selectorI4bboxEEZNS1_11reduce_implILb1ES3_PS5_S8_S5_14bbox_reductionEE10hipError_tPvRmT1_T2_T3_mT4_P12ihipStream_tbEUlT_E1_NS1_11comp_targetILNS1_3genE10ELNS1_11target_archE1200ELNS1_3gpuE4ELNS1_3repE0EEENS1_30default_config_static_selectorELNS0_4arch9wavefront6targetE1EEEvSD_
	.p2align	8
	.type	_ZN7rocprim17ROCPRIM_400000_NS6detail17trampoline_kernelINS0_14default_configENS1_22reduce_config_selectorI4bboxEEZNS1_11reduce_implILb1ES3_PS5_S8_S5_14bbox_reductionEE10hipError_tPvRmT1_T2_T3_mT4_P12ihipStream_tbEUlT_E1_NS1_11comp_targetILNS1_3genE10ELNS1_11target_archE1200ELNS1_3gpuE4ELNS1_3repE0EEENS1_30default_config_static_selectorELNS0_4arch9wavefront6targetE1EEEvSD_,@function
_ZN7rocprim17ROCPRIM_400000_NS6detail17trampoline_kernelINS0_14default_configENS1_22reduce_config_selectorI4bboxEEZNS1_11reduce_implILb1ES3_PS5_S8_S5_14bbox_reductionEE10hipError_tPvRmT1_T2_T3_mT4_P12ihipStream_tbEUlT_E1_NS1_11comp_targetILNS1_3genE10ELNS1_11target_archE1200ELNS1_3gpuE4ELNS1_3repE0EEENS1_30default_config_static_selectorELNS0_4arch9wavefront6targetE1EEEvSD_: ; @_ZN7rocprim17ROCPRIM_400000_NS6detail17trampoline_kernelINS0_14default_configENS1_22reduce_config_selectorI4bboxEEZNS1_11reduce_implILb1ES3_PS5_S8_S5_14bbox_reductionEE10hipError_tPvRmT1_T2_T3_mT4_P12ihipStream_tbEUlT_E1_NS1_11comp_targetILNS1_3genE10ELNS1_11target_archE1200ELNS1_3gpuE4ELNS1_3repE0EEENS1_30default_config_static_selectorELNS0_4arch9wavefront6targetE1EEEvSD_
; %bb.0:
	.section	.rodata,"a",@progbits
	.p2align	6, 0x0
	.amdhsa_kernel _ZN7rocprim17ROCPRIM_400000_NS6detail17trampoline_kernelINS0_14default_configENS1_22reduce_config_selectorI4bboxEEZNS1_11reduce_implILb1ES3_PS5_S8_S5_14bbox_reductionEE10hipError_tPvRmT1_T2_T3_mT4_P12ihipStream_tbEUlT_E1_NS1_11comp_targetILNS1_3genE10ELNS1_11target_archE1200ELNS1_3gpuE4ELNS1_3repE0EEENS1_30default_config_static_selectorELNS0_4arch9wavefront6targetE1EEEvSD_
		.amdhsa_group_segment_fixed_size 0
		.amdhsa_private_segment_fixed_size 0
		.amdhsa_kernarg_size 56
		.amdhsa_user_sgpr_count 6
		.amdhsa_user_sgpr_private_segment_buffer 1
		.amdhsa_user_sgpr_dispatch_ptr 0
		.amdhsa_user_sgpr_queue_ptr 0
		.amdhsa_user_sgpr_kernarg_segment_ptr 1
		.amdhsa_user_sgpr_dispatch_id 0
		.amdhsa_user_sgpr_flat_scratch_init 0
		.amdhsa_user_sgpr_private_segment_size 0
		.amdhsa_uses_dynamic_stack 0
		.amdhsa_system_sgpr_private_segment_wavefront_offset 0
		.amdhsa_system_sgpr_workgroup_id_x 1
		.amdhsa_system_sgpr_workgroup_id_y 0
		.amdhsa_system_sgpr_workgroup_id_z 0
		.amdhsa_system_sgpr_workgroup_info 0
		.amdhsa_system_vgpr_workitem_id 0
		.amdhsa_next_free_vgpr 1
		.amdhsa_next_free_sgpr 0
		.amdhsa_reserve_vcc 0
		.amdhsa_reserve_flat_scratch 0
		.amdhsa_float_round_mode_32 0
		.amdhsa_float_round_mode_16_64 0
		.amdhsa_float_denorm_mode_32 3
		.amdhsa_float_denorm_mode_16_64 3
		.amdhsa_dx10_clamp 1
		.amdhsa_ieee_mode 1
		.amdhsa_fp16_overflow 0
		.amdhsa_exception_fp_ieee_invalid_op 0
		.amdhsa_exception_fp_denorm_src 0
		.amdhsa_exception_fp_ieee_div_zero 0
		.amdhsa_exception_fp_ieee_overflow 0
		.amdhsa_exception_fp_ieee_underflow 0
		.amdhsa_exception_fp_ieee_inexact 0
		.amdhsa_exception_int_div_zero 0
	.end_amdhsa_kernel
	.section	.text._ZN7rocprim17ROCPRIM_400000_NS6detail17trampoline_kernelINS0_14default_configENS1_22reduce_config_selectorI4bboxEEZNS1_11reduce_implILb1ES3_PS5_S8_S5_14bbox_reductionEE10hipError_tPvRmT1_T2_T3_mT4_P12ihipStream_tbEUlT_E1_NS1_11comp_targetILNS1_3genE10ELNS1_11target_archE1200ELNS1_3gpuE4ELNS1_3repE0EEENS1_30default_config_static_selectorELNS0_4arch9wavefront6targetE1EEEvSD_,"axG",@progbits,_ZN7rocprim17ROCPRIM_400000_NS6detail17trampoline_kernelINS0_14default_configENS1_22reduce_config_selectorI4bboxEEZNS1_11reduce_implILb1ES3_PS5_S8_S5_14bbox_reductionEE10hipError_tPvRmT1_T2_T3_mT4_P12ihipStream_tbEUlT_E1_NS1_11comp_targetILNS1_3genE10ELNS1_11target_archE1200ELNS1_3gpuE4ELNS1_3repE0EEENS1_30default_config_static_selectorELNS0_4arch9wavefront6targetE1EEEvSD_,comdat
.Lfunc_end17:
	.size	_ZN7rocprim17ROCPRIM_400000_NS6detail17trampoline_kernelINS0_14default_configENS1_22reduce_config_selectorI4bboxEEZNS1_11reduce_implILb1ES3_PS5_S8_S5_14bbox_reductionEE10hipError_tPvRmT1_T2_T3_mT4_P12ihipStream_tbEUlT_E1_NS1_11comp_targetILNS1_3genE10ELNS1_11target_archE1200ELNS1_3gpuE4ELNS1_3repE0EEENS1_30default_config_static_selectorELNS0_4arch9wavefront6targetE1EEEvSD_, .Lfunc_end17-_ZN7rocprim17ROCPRIM_400000_NS6detail17trampoline_kernelINS0_14default_configENS1_22reduce_config_selectorI4bboxEEZNS1_11reduce_implILb1ES3_PS5_S8_S5_14bbox_reductionEE10hipError_tPvRmT1_T2_T3_mT4_P12ihipStream_tbEUlT_E1_NS1_11comp_targetILNS1_3genE10ELNS1_11target_archE1200ELNS1_3gpuE4ELNS1_3repE0EEENS1_30default_config_static_selectorELNS0_4arch9wavefront6targetE1EEEvSD_
                                        ; -- End function
	.set _ZN7rocprim17ROCPRIM_400000_NS6detail17trampoline_kernelINS0_14default_configENS1_22reduce_config_selectorI4bboxEEZNS1_11reduce_implILb1ES3_PS5_S8_S5_14bbox_reductionEE10hipError_tPvRmT1_T2_T3_mT4_P12ihipStream_tbEUlT_E1_NS1_11comp_targetILNS1_3genE10ELNS1_11target_archE1200ELNS1_3gpuE4ELNS1_3repE0EEENS1_30default_config_static_selectorELNS0_4arch9wavefront6targetE1EEEvSD_.num_vgpr, 0
	.set _ZN7rocprim17ROCPRIM_400000_NS6detail17trampoline_kernelINS0_14default_configENS1_22reduce_config_selectorI4bboxEEZNS1_11reduce_implILb1ES3_PS5_S8_S5_14bbox_reductionEE10hipError_tPvRmT1_T2_T3_mT4_P12ihipStream_tbEUlT_E1_NS1_11comp_targetILNS1_3genE10ELNS1_11target_archE1200ELNS1_3gpuE4ELNS1_3repE0EEENS1_30default_config_static_selectorELNS0_4arch9wavefront6targetE1EEEvSD_.num_agpr, 0
	.set _ZN7rocprim17ROCPRIM_400000_NS6detail17trampoline_kernelINS0_14default_configENS1_22reduce_config_selectorI4bboxEEZNS1_11reduce_implILb1ES3_PS5_S8_S5_14bbox_reductionEE10hipError_tPvRmT1_T2_T3_mT4_P12ihipStream_tbEUlT_E1_NS1_11comp_targetILNS1_3genE10ELNS1_11target_archE1200ELNS1_3gpuE4ELNS1_3repE0EEENS1_30default_config_static_selectorELNS0_4arch9wavefront6targetE1EEEvSD_.numbered_sgpr, 0
	.set _ZN7rocprim17ROCPRIM_400000_NS6detail17trampoline_kernelINS0_14default_configENS1_22reduce_config_selectorI4bboxEEZNS1_11reduce_implILb1ES3_PS5_S8_S5_14bbox_reductionEE10hipError_tPvRmT1_T2_T3_mT4_P12ihipStream_tbEUlT_E1_NS1_11comp_targetILNS1_3genE10ELNS1_11target_archE1200ELNS1_3gpuE4ELNS1_3repE0EEENS1_30default_config_static_selectorELNS0_4arch9wavefront6targetE1EEEvSD_.num_named_barrier, 0
	.set _ZN7rocprim17ROCPRIM_400000_NS6detail17trampoline_kernelINS0_14default_configENS1_22reduce_config_selectorI4bboxEEZNS1_11reduce_implILb1ES3_PS5_S8_S5_14bbox_reductionEE10hipError_tPvRmT1_T2_T3_mT4_P12ihipStream_tbEUlT_E1_NS1_11comp_targetILNS1_3genE10ELNS1_11target_archE1200ELNS1_3gpuE4ELNS1_3repE0EEENS1_30default_config_static_selectorELNS0_4arch9wavefront6targetE1EEEvSD_.private_seg_size, 0
	.set _ZN7rocprim17ROCPRIM_400000_NS6detail17trampoline_kernelINS0_14default_configENS1_22reduce_config_selectorI4bboxEEZNS1_11reduce_implILb1ES3_PS5_S8_S5_14bbox_reductionEE10hipError_tPvRmT1_T2_T3_mT4_P12ihipStream_tbEUlT_E1_NS1_11comp_targetILNS1_3genE10ELNS1_11target_archE1200ELNS1_3gpuE4ELNS1_3repE0EEENS1_30default_config_static_selectorELNS0_4arch9wavefront6targetE1EEEvSD_.uses_vcc, 0
	.set _ZN7rocprim17ROCPRIM_400000_NS6detail17trampoline_kernelINS0_14default_configENS1_22reduce_config_selectorI4bboxEEZNS1_11reduce_implILb1ES3_PS5_S8_S5_14bbox_reductionEE10hipError_tPvRmT1_T2_T3_mT4_P12ihipStream_tbEUlT_E1_NS1_11comp_targetILNS1_3genE10ELNS1_11target_archE1200ELNS1_3gpuE4ELNS1_3repE0EEENS1_30default_config_static_selectorELNS0_4arch9wavefront6targetE1EEEvSD_.uses_flat_scratch, 0
	.set _ZN7rocprim17ROCPRIM_400000_NS6detail17trampoline_kernelINS0_14default_configENS1_22reduce_config_selectorI4bboxEEZNS1_11reduce_implILb1ES3_PS5_S8_S5_14bbox_reductionEE10hipError_tPvRmT1_T2_T3_mT4_P12ihipStream_tbEUlT_E1_NS1_11comp_targetILNS1_3genE10ELNS1_11target_archE1200ELNS1_3gpuE4ELNS1_3repE0EEENS1_30default_config_static_selectorELNS0_4arch9wavefront6targetE1EEEvSD_.has_dyn_sized_stack, 0
	.set _ZN7rocprim17ROCPRIM_400000_NS6detail17trampoline_kernelINS0_14default_configENS1_22reduce_config_selectorI4bboxEEZNS1_11reduce_implILb1ES3_PS5_S8_S5_14bbox_reductionEE10hipError_tPvRmT1_T2_T3_mT4_P12ihipStream_tbEUlT_E1_NS1_11comp_targetILNS1_3genE10ELNS1_11target_archE1200ELNS1_3gpuE4ELNS1_3repE0EEENS1_30default_config_static_selectorELNS0_4arch9wavefront6targetE1EEEvSD_.has_recursion, 0
	.set _ZN7rocprim17ROCPRIM_400000_NS6detail17trampoline_kernelINS0_14default_configENS1_22reduce_config_selectorI4bboxEEZNS1_11reduce_implILb1ES3_PS5_S8_S5_14bbox_reductionEE10hipError_tPvRmT1_T2_T3_mT4_P12ihipStream_tbEUlT_E1_NS1_11comp_targetILNS1_3genE10ELNS1_11target_archE1200ELNS1_3gpuE4ELNS1_3repE0EEENS1_30default_config_static_selectorELNS0_4arch9wavefront6targetE1EEEvSD_.has_indirect_call, 0
	.section	.AMDGPU.csdata,"",@progbits
; Kernel info:
; codeLenInByte = 0
; TotalNumSgprs: 4
; NumVgprs: 0
; ScratchSize: 0
; MemoryBound: 0
; FloatMode: 240
; IeeeMode: 1
; LDSByteSize: 0 bytes/workgroup (compile time only)
; SGPRBlocks: 0
; VGPRBlocks: 0
; NumSGPRsForWavesPerEU: 4
; NumVGPRsForWavesPerEU: 1
; Occupancy: 10
; WaveLimiterHint : 0
; COMPUTE_PGM_RSRC2:SCRATCH_EN: 0
; COMPUTE_PGM_RSRC2:USER_SGPR: 6
; COMPUTE_PGM_RSRC2:TRAP_HANDLER: 0
; COMPUTE_PGM_RSRC2:TGID_X_EN: 1
; COMPUTE_PGM_RSRC2:TGID_Y_EN: 0
; COMPUTE_PGM_RSRC2:TGID_Z_EN: 0
; COMPUTE_PGM_RSRC2:TIDIG_COMP_CNT: 0
	.section	.text._ZN7rocprim17ROCPRIM_400000_NS6detail17trampoline_kernelINS0_14default_configENS1_22reduce_config_selectorI4bboxEEZNS1_11reduce_implILb1ES3_PS5_S8_S5_14bbox_reductionEE10hipError_tPvRmT1_T2_T3_mT4_P12ihipStream_tbEUlT_E1_NS1_11comp_targetILNS1_3genE9ELNS1_11target_archE1100ELNS1_3gpuE3ELNS1_3repE0EEENS1_30default_config_static_selectorELNS0_4arch9wavefront6targetE1EEEvSD_,"axG",@progbits,_ZN7rocprim17ROCPRIM_400000_NS6detail17trampoline_kernelINS0_14default_configENS1_22reduce_config_selectorI4bboxEEZNS1_11reduce_implILb1ES3_PS5_S8_S5_14bbox_reductionEE10hipError_tPvRmT1_T2_T3_mT4_P12ihipStream_tbEUlT_E1_NS1_11comp_targetILNS1_3genE9ELNS1_11target_archE1100ELNS1_3gpuE3ELNS1_3repE0EEENS1_30default_config_static_selectorELNS0_4arch9wavefront6targetE1EEEvSD_,comdat
	.protected	_ZN7rocprim17ROCPRIM_400000_NS6detail17trampoline_kernelINS0_14default_configENS1_22reduce_config_selectorI4bboxEEZNS1_11reduce_implILb1ES3_PS5_S8_S5_14bbox_reductionEE10hipError_tPvRmT1_T2_T3_mT4_P12ihipStream_tbEUlT_E1_NS1_11comp_targetILNS1_3genE9ELNS1_11target_archE1100ELNS1_3gpuE3ELNS1_3repE0EEENS1_30default_config_static_selectorELNS0_4arch9wavefront6targetE1EEEvSD_ ; -- Begin function _ZN7rocprim17ROCPRIM_400000_NS6detail17trampoline_kernelINS0_14default_configENS1_22reduce_config_selectorI4bboxEEZNS1_11reduce_implILb1ES3_PS5_S8_S5_14bbox_reductionEE10hipError_tPvRmT1_T2_T3_mT4_P12ihipStream_tbEUlT_E1_NS1_11comp_targetILNS1_3genE9ELNS1_11target_archE1100ELNS1_3gpuE3ELNS1_3repE0EEENS1_30default_config_static_selectorELNS0_4arch9wavefront6targetE1EEEvSD_
	.globl	_ZN7rocprim17ROCPRIM_400000_NS6detail17trampoline_kernelINS0_14default_configENS1_22reduce_config_selectorI4bboxEEZNS1_11reduce_implILb1ES3_PS5_S8_S5_14bbox_reductionEE10hipError_tPvRmT1_T2_T3_mT4_P12ihipStream_tbEUlT_E1_NS1_11comp_targetILNS1_3genE9ELNS1_11target_archE1100ELNS1_3gpuE3ELNS1_3repE0EEENS1_30default_config_static_selectorELNS0_4arch9wavefront6targetE1EEEvSD_
	.p2align	8
	.type	_ZN7rocprim17ROCPRIM_400000_NS6detail17trampoline_kernelINS0_14default_configENS1_22reduce_config_selectorI4bboxEEZNS1_11reduce_implILb1ES3_PS5_S8_S5_14bbox_reductionEE10hipError_tPvRmT1_T2_T3_mT4_P12ihipStream_tbEUlT_E1_NS1_11comp_targetILNS1_3genE9ELNS1_11target_archE1100ELNS1_3gpuE3ELNS1_3repE0EEENS1_30default_config_static_selectorELNS0_4arch9wavefront6targetE1EEEvSD_,@function
_ZN7rocprim17ROCPRIM_400000_NS6detail17trampoline_kernelINS0_14default_configENS1_22reduce_config_selectorI4bboxEEZNS1_11reduce_implILb1ES3_PS5_S8_S5_14bbox_reductionEE10hipError_tPvRmT1_T2_T3_mT4_P12ihipStream_tbEUlT_E1_NS1_11comp_targetILNS1_3genE9ELNS1_11target_archE1100ELNS1_3gpuE3ELNS1_3repE0EEENS1_30default_config_static_selectorELNS0_4arch9wavefront6targetE1EEEvSD_: ; @_ZN7rocprim17ROCPRIM_400000_NS6detail17trampoline_kernelINS0_14default_configENS1_22reduce_config_selectorI4bboxEEZNS1_11reduce_implILb1ES3_PS5_S8_S5_14bbox_reductionEE10hipError_tPvRmT1_T2_T3_mT4_P12ihipStream_tbEUlT_E1_NS1_11comp_targetILNS1_3genE9ELNS1_11target_archE1100ELNS1_3gpuE3ELNS1_3repE0EEENS1_30default_config_static_selectorELNS0_4arch9wavefront6targetE1EEEvSD_
; %bb.0:
	.section	.rodata,"a",@progbits
	.p2align	6, 0x0
	.amdhsa_kernel _ZN7rocprim17ROCPRIM_400000_NS6detail17trampoline_kernelINS0_14default_configENS1_22reduce_config_selectorI4bboxEEZNS1_11reduce_implILb1ES3_PS5_S8_S5_14bbox_reductionEE10hipError_tPvRmT1_T2_T3_mT4_P12ihipStream_tbEUlT_E1_NS1_11comp_targetILNS1_3genE9ELNS1_11target_archE1100ELNS1_3gpuE3ELNS1_3repE0EEENS1_30default_config_static_selectorELNS0_4arch9wavefront6targetE1EEEvSD_
		.amdhsa_group_segment_fixed_size 0
		.amdhsa_private_segment_fixed_size 0
		.amdhsa_kernarg_size 56
		.amdhsa_user_sgpr_count 6
		.amdhsa_user_sgpr_private_segment_buffer 1
		.amdhsa_user_sgpr_dispatch_ptr 0
		.amdhsa_user_sgpr_queue_ptr 0
		.amdhsa_user_sgpr_kernarg_segment_ptr 1
		.amdhsa_user_sgpr_dispatch_id 0
		.amdhsa_user_sgpr_flat_scratch_init 0
		.amdhsa_user_sgpr_private_segment_size 0
		.amdhsa_uses_dynamic_stack 0
		.amdhsa_system_sgpr_private_segment_wavefront_offset 0
		.amdhsa_system_sgpr_workgroup_id_x 1
		.amdhsa_system_sgpr_workgroup_id_y 0
		.amdhsa_system_sgpr_workgroup_id_z 0
		.amdhsa_system_sgpr_workgroup_info 0
		.amdhsa_system_vgpr_workitem_id 0
		.amdhsa_next_free_vgpr 1
		.amdhsa_next_free_sgpr 0
		.amdhsa_reserve_vcc 0
		.amdhsa_reserve_flat_scratch 0
		.amdhsa_float_round_mode_32 0
		.amdhsa_float_round_mode_16_64 0
		.amdhsa_float_denorm_mode_32 3
		.amdhsa_float_denorm_mode_16_64 3
		.amdhsa_dx10_clamp 1
		.amdhsa_ieee_mode 1
		.amdhsa_fp16_overflow 0
		.amdhsa_exception_fp_ieee_invalid_op 0
		.amdhsa_exception_fp_denorm_src 0
		.amdhsa_exception_fp_ieee_div_zero 0
		.amdhsa_exception_fp_ieee_overflow 0
		.amdhsa_exception_fp_ieee_underflow 0
		.amdhsa_exception_fp_ieee_inexact 0
		.amdhsa_exception_int_div_zero 0
	.end_amdhsa_kernel
	.section	.text._ZN7rocprim17ROCPRIM_400000_NS6detail17trampoline_kernelINS0_14default_configENS1_22reduce_config_selectorI4bboxEEZNS1_11reduce_implILb1ES3_PS5_S8_S5_14bbox_reductionEE10hipError_tPvRmT1_T2_T3_mT4_P12ihipStream_tbEUlT_E1_NS1_11comp_targetILNS1_3genE9ELNS1_11target_archE1100ELNS1_3gpuE3ELNS1_3repE0EEENS1_30default_config_static_selectorELNS0_4arch9wavefront6targetE1EEEvSD_,"axG",@progbits,_ZN7rocprim17ROCPRIM_400000_NS6detail17trampoline_kernelINS0_14default_configENS1_22reduce_config_selectorI4bboxEEZNS1_11reduce_implILb1ES3_PS5_S8_S5_14bbox_reductionEE10hipError_tPvRmT1_T2_T3_mT4_P12ihipStream_tbEUlT_E1_NS1_11comp_targetILNS1_3genE9ELNS1_11target_archE1100ELNS1_3gpuE3ELNS1_3repE0EEENS1_30default_config_static_selectorELNS0_4arch9wavefront6targetE1EEEvSD_,comdat
.Lfunc_end18:
	.size	_ZN7rocprim17ROCPRIM_400000_NS6detail17trampoline_kernelINS0_14default_configENS1_22reduce_config_selectorI4bboxEEZNS1_11reduce_implILb1ES3_PS5_S8_S5_14bbox_reductionEE10hipError_tPvRmT1_T2_T3_mT4_P12ihipStream_tbEUlT_E1_NS1_11comp_targetILNS1_3genE9ELNS1_11target_archE1100ELNS1_3gpuE3ELNS1_3repE0EEENS1_30default_config_static_selectorELNS0_4arch9wavefront6targetE1EEEvSD_, .Lfunc_end18-_ZN7rocprim17ROCPRIM_400000_NS6detail17trampoline_kernelINS0_14default_configENS1_22reduce_config_selectorI4bboxEEZNS1_11reduce_implILb1ES3_PS5_S8_S5_14bbox_reductionEE10hipError_tPvRmT1_T2_T3_mT4_P12ihipStream_tbEUlT_E1_NS1_11comp_targetILNS1_3genE9ELNS1_11target_archE1100ELNS1_3gpuE3ELNS1_3repE0EEENS1_30default_config_static_selectorELNS0_4arch9wavefront6targetE1EEEvSD_
                                        ; -- End function
	.set _ZN7rocprim17ROCPRIM_400000_NS6detail17trampoline_kernelINS0_14default_configENS1_22reduce_config_selectorI4bboxEEZNS1_11reduce_implILb1ES3_PS5_S8_S5_14bbox_reductionEE10hipError_tPvRmT1_T2_T3_mT4_P12ihipStream_tbEUlT_E1_NS1_11comp_targetILNS1_3genE9ELNS1_11target_archE1100ELNS1_3gpuE3ELNS1_3repE0EEENS1_30default_config_static_selectorELNS0_4arch9wavefront6targetE1EEEvSD_.num_vgpr, 0
	.set _ZN7rocprim17ROCPRIM_400000_NS6detail17trampoline_kernelINS0_14default_configENS1_22reduce_config_selectorI4bboxEEZNS1_11reduce_implILb1ES3_PS5_S8_S5_14bbox_reductionEE10hipError_tPvRmT1_T2_T3_mT4_P12ihipStream_tbEUlT_E1_NS1_11comp_targetILNS1_3genE9ELNS1_11target_archE1100ELNS1_3gpuE3ELNS1_3repE0EEENS1_30default_config_static_selectorELNS0_4arch9wavefront6targetE1EEEvSD_.num_agpr, 0
	.set _ZN7rocprim17ROCPRIM_400000_NS6detail17trampoline_kernelINS0_14default_configENS1_22reduce_config_selectorI4bboxEEZNS1_11reduce_implILb1ES3_PS5_S8_S5_14bbox_reductionEE10hipError_tPvRmT1_T2_T3_mT4_P12ihipStream_tbEUlT_E1_NS1_11comp_targetILNS1_3genE9ELNS1_11target_archE1100ELNS1_3gpuE3ELNS1_3repE0EEENS1_30default_config_static_selectorELNS0_4arch9wavefront6targetE1EEEvSD_.numbered_sgpr, 0
	.set _ZN7rocprim17ROCPRIM_400000_NS6detail17trampoline_kernelINS0_14default_configENS1_22reduce_config_selectorI4bboxEEZNS1_11reduce_implILb1ES3_PS5_S8_S5_14bbox_reductionEE10hipError_tPvRmT1_T2_T3_mT4_P12ihipStream_tbEUlT_E1_NS1_11comp_targetILNS1_3genE9ELNS1_11target_archE1100ELNS1_3gpuE3ELNS1_3repE0EEENS1_30default_config_static_selectorELNS0_4arch9wavefront6targetE1EEEvSD_.num_named_barrier, 0
	.set _ZN7rocprim17ROCPRIM_400000_NS6detail17trampoline_kernelINS0_14default_configENS1_22reduce_config_selectorI4bboxEEZNS1_11reduce_implILb1ES3_PS5_S8_S5_14bbox_reductionEE10hipError_tPvRmT1_T2_T3_mT4_P12ihipStream_tbEUlT_E1_NS1_11comp_targetILNS1_3genE9ELNS1_11target_archE1100ELNS1_3gpuE3ELNS1_3repE0EEENS1_30default_config_static_selectorELNS0_4arch9wavefront6targetE1EEEvSD_.private_seg_size, 0
	.set _ZN7rocprim17ROCPRIM_400000_NS6detail17trampoline_kernelINS0_14default_configENS1_22reduce_config_selectorI4bboxEEZNS1_11reduce_implILb1ES3_PS5_S8_S5_14bbox_reductionEE10hipError_tPvRmT1_T2_T3_mT4_P12ihipStream_tbEUlT_E1_NS1_11comp_targetILNS1_3genE9ELNS1_11target_archE1100ELNS1_3gpuE3ELNS1_3repE0EEENS1_30default_config_static_selectorELNS0_4arch9wavefront6targetE1EEEvSD_.uses_vcc, 0
	.set _ZN7rocprim17ROCPRIM_400000_NS6detail17trampoline_kernelINS0_14default_configENS1_22reduce_config_selectorI4bboxEEZNS1_11reduce_implILb1ES3_PS5_S8_S5_14bbox_reductionEE10hipError_tPvRmT1_T2_T3_mT4_P12ihipStream_tbEUlT_E1_NS1_11comp_targetILNS1_3genE9ELNS1_11target_archE1100ELNS1_3gpuE3ELNS1_3repE0EEENS1_30default_config_static_selectorELNS0_4arch9wavefront6targetE1EEEvSD_.uses_flat_scratch, 0
	.set _ZN7rocprim17ROCPRIM_400000_NS6detail17trampoline_kernelINS0_14default_configENS1_22reduce_config_selectorI4bboxEEZNS1_11reduce_implILb1ES3_PS5_S8_S5_14bbox_reductionEE10hipError_tPvRmT1_T2_T3_mT4_P12ihipStream_tbEUlT_E1_NS1_11comp_targetILNS1_3genE9ELNS1_11target_archE1100ELNS1_3gpuE3ELNS1_3repE0EEENS1_30default_config_static_selectorELNS0_4arch9wavefront6targetE1EEEvSD_.has_dyn_sized_stack, 0
	.set _ZN7rocprim17ROCPRIM_400000_NS6detail17trampoline_kernelINS0_14default_configENS1_22reduce_config_selectorI4bboxEEZNS1_11reduce_implILb1ES3_PS5_S8_S5_14bbox_reductionEE10hipError_tPvRmT1_T2_T3_mT4_P12ihipStream_tbEUlT_E1_NS1_11comp_targetILNS1_3genE9ELNS1_11target_archE1100ELNS1_3gpuE3ELNS1_3repE0EEENS1_30default_config_static_selectorELNS0_4arch9wavefront6targetE1EEEvSD_.has_recursion, 0
	.set _ZN7rocprim17ROCPRIM_400000_NS6detail17trampoline_kernelINS0_14default_configENS1_22reduce_config_selectorI4bboxEEZNS1_11reduce_implILb1ES3_PS5_S8_S5_14bbox_reductionEE10hipError_tPvRmT1_T2_T3_mT4_P12ihipStream_tbEUlT_E1_NS1_11comp_targetILNS1_3genE9ELNS1_11target_archE1100ELNS1_3gpuE3ELNS1_3repE0EEENS1_30default_config_static_selectorELNS0_4arch9wavefront6targetE1EEEvSD_.has_indirect_call, 0
	.section	.AMDGPU.csdata,"",@progbits
; Kernel info:
; codeLenInByte = 0
; TotalNumSgprs: 4
; NumVgprs: 0
; ScratchSize: 0
; MemoryBound: 0
; FloatMode: 240
; IeeeMode: 1
; LDSByteSize: 0 bytes/workgroup (compile time only)
; SGPRBlocks: 0
; VGPRBlocks: 0
; NumSGPRsForWavesPerEU: 4
; NumVGPRsForWavesPerEU: 1
; Occupancy: 10
; WaveLimiterHint : 0
; COMPUTE_PGM_RSRC2:SCRATCH_EN: 0
; COMPUTE_PGM_RSRC2:USER_SGPR: 6
; COMPUTE_PGM_RSRC2:TRAP_HANDLER: 0
; COMPUTE_PGM_RSRC2:TGID_X_EN: 1
; COMPUTE_PGM_RSRC2:TGID_Y_EN: 0
; COMPUTE_PGM_RSRC2:TGID_Z_EN: 0
; COMPUTE_PGM_RSRC2:TIDIG_COMP_CNT: 0
	.section	.text._ZN7rocprim17ROCPRIM_400000_NS6detail17trampoline_kernelINS0_14default_configENS1_22reduce_config_selectorI4bboxEEZNS1_11reduce_implILb1ES3_PS5_S8_S5_14bbox_reductionEE10hipError_tPvRmT1_T2_T3_mT4_P12ihipStream_tbEUlT_E1_NS1_11comp_targetILNS1_3genE8ELNS1_11target_archE1030ELNS1_3gpuE2ELNS1_3repE0EEENS1_30default_config_static_selectorELNS0_4arch9wavefront6targetE1EEEvSD_,"axG",@progbits,_ZN7rocprim17ROCPRIM_400000_NS6detail17trampoline_kernelINS0_14default_configENS1_22reduce_config_selectorI4bboxEEZNS1_11reduce_implILb1ES3_PS5_S8_S5_14bbox_reductionEE10hipError_tPvRmT1_T2_T3_mT4_P12ihipStream_tbEUlT_E1_NS1_11comp_targetILNS1_3genE8ELNS1_11target_archE1030ELNS1_3gpuE2ELNS1_3repE0EEENS1_30default_config_static_selectorELNS0_4arch9wavefront6targetE1EEEvSD_,comdat
	.protected	_ZN7rocprim17ROCPRIM_400000_NS6detail17trampoline_kernelINS0_14default_configENS1_22reduce_config_selectorI4bboxEEZNS1_11reduce_implILb1ES3_PS5_S8_S5_14bbox_reductionEE10hipError_tPvRmT1_T2_T3_mT4_P12ihipStream_tbEUlT_E1_NS1_11comp_targetILNS1_3genE8ELNS1_11target_archE1030ELNS1_3gpuE2ELNS1_3repE0EEENS1_30default_config_static_selectorELNS0_4arch9wavefront6targetE1EEEvSD_ ; -- Begin function _ZN7rocprim17ROCPRIM_400000_NS6detail17trampoline_kernelINS0_14default_configENS1_22reduce_config_selectorI4bboxEEZNS1_11reduce_implILb1ES3_PS5_S8_S5_14bbox_reductionEE10hipError_tPvRmT1_T2_T3_mT4_P12ihipStream_tbEUlT_E1_NS1_11comp_targetILNS1_3genE8ELNS1_11target_archE1030ELNS1_3gpuE2ELNS1_3repE0EEENS1_30default_config_static_selectorELNS0_4arch9wavefront6targetE1EEEvSD_
	.globl	_ZN7rocprim17ROCPRIM_400000_NS6detail17trampoline_kernelINS0_14default_configENS1_22reduce_config_selectorI4bboxEEZNS1_11reduce_implILb1ES3_PS5_S8_S5_14bbox_reductionEE10hipError_tPvRmT1_T2_T3_mT4_P12ihipStream_tbEUlT_E1_NS1_11comp_targetILNS1_3genE8ELNS1_11target_archE1030ELNS1_3gpuE2ELNS1_3repE0EEENS1_30default_config_static_selectorELNS0_4arch9wavefront6targetE1EEEvSD_
	.p2align	8
	.type	_ZN7rocprim17ROCPRIM_400000_NS6detail17trampoline_kernelINS0_14default_configENS1_22reduce_config_selectorI4bboxEEZNS1_11reduce_implILb1ES3_PS5_S8_S5_14bbox_reductionEE10hipError_tPvRmT1_T2_T3_mT4_P12ihipStream_tbEUlT_E1_NS1_11comp_targetILNS1_3genE8ELNS1_11target_archE1030ELNS1_3gpuE2ELNS1_3repE0EEENS1_30default_config_static_selectorELNS0_4arch9wavefront6targetE1EEEvSD_,@function
_ZN7rocprim17ROCPRIM_400000_NS6detail17trampoline_kernelINS0_14default_configENS1_22reduce_config_selectorI4bboxEEZNS1_11reduce_implILb1ES3_PS5_S8_S5_14bbox_reductionEE10hipError_tPvRmT1_T2_T3_mT4_P12ihipStream_tbEUlT_E1_NS1_11comp_targetILNS1_3genE8ELNS1_11target_archE1030ELNS1_3gpuE2ELNS1_3repE0EEENS1_30default_config_static_selectorELNS0_4arch9wavefront6targetE1EEEvSD_: ; @_ZN7rocprim17ROCPRIM_400000_NS6detail17trampoline_kernelINS0_14default_configENS1_22reduce_config_selectorI4bboxEEZNS1_11reduce_implILb1ES3_PS5_S8_S5_14bbox_reductionEE10hipError_tPvRmT1_T2_T3_mT4_P12ihipStream_tbEUlT_E1_NS1_11comp_targetILNS1_3genE8ELNS1_11target_archE1030ELNS1_3gpuE2ELNS1_3repE0EEENS1_30default_config_static_selectorELNS0_4arch9wavefront6targetE1EEEvSD_
; %bb.0:
	.section	.rodata,"a",@progbits
	.p2align	6, 0x0
	.amdhsa_kernel _ZN7rocprim17ROCPRIM_400000_NS6detail17trampoline_kernelINS0_14default_configENS1_22reduce_config_selectorI4bboxEEZNS1_11reduce_implILb1ES3_PS5_S8_S5_14bbox_reductionEE10hipError_tPvRmT1_T2_T3_mT4_P12ihipStream_tbEUlT_E1_NS1_11comp_targetILNS1_3genE8ELNS1_11target_archE1030ELNS1_3gpuE2ELNS1_3repE0EEENS1_30default_config_static_selectorELNS0_4arch9wavefront6targetE1EEEvSD_
		.amdhsa_group_segment_fixed_size 0
		.amdhsa_private_segment_fixed_size 0
		.amdhsa_kernarg_size 56
		.amdhsa_user_sgpr_count 6
		.amdhsa_user_sgpr_private_segment_buffer 1
		.amdhsa_user_sgpr_dispatch_ptr 0
		.amdhsa_user_sgpr_queue_ptr 0
		.amdhsa_user_sgpr_kernarg_segment_ptr 1
		.amdhsa_user_sgpr_dispatch_id 0
		.amdhsa_user_sgpr_flat_scratch_init 0
		.amdhsa_user_sgpr_private_segment_size 0
		.amdhsa_uses_dynamic_stack 0
		.amdhsa_system_sgpr_private_segment_wavefront_offset 0
		.amdhsa_system_sgpr_workgroup_id_x 1
		.amdhsa_system_sgpr_workgroup_id_y 0
		.amdhsa_system_sgpr_workgroup_id_z 0
		.amdhsa_system_sgpr_workgroup_info 0
		.amdhsa_system_vgpr_workitem_id 0
		.amdhsa_next_free_vgpr 1
		.amdhsa_next_free_sgpr 0
		.amdhsa_reserve_vcc 0
		.amdhsa_reserve_flat_scratch 0
		.amdhsa_float_round_mode_32 0
		.amdhsa_float_round_mode_16_64 0
		.amdhsa_float_denorm_mode_32 3
		.amdhsa_float_denorm_mode_16_64 3
		.amdhsa_dx10_clamp 1
		.amdhsa_ieee_mode 1
		.amdhsa_fp16_overflow 0
		.amdhsa_exception_fp_ieee_invalid_op 0
		.amdhsa_exception_fp_denorm_src 0
		.amdhsa_exception_fp_ieee_div_zero 0
		.amdhsa_exception_fp_ieee_overflow 0
		.amdhsa_exception_fp_ieee_underflow 0
		.amdhsa_exception_fp_ieee_inexact 0
		.amdhsa_exception_int_div_zero 0
	.end_amdhsa_kernel
	.section	.text._ZN7rocprim17ROCPRIM_400000_NS6detail17trampoline_kernelINS0_14default_configENS1_22reduce_config_selectorI4bboxEEZNS1_11reduce_implILb1ES3_PS5_S8_S5_14bbox_reductionEE10hipError_tPvRmT1_T2_T3_mT4_P12ihipStream_tbEUlT_E1_NS1_11comp_targetILNS1_3genE8ELNS1_11target_archE1030ELNS1_3gpuE2ELNS1_3repE0EEENS1_30default_config_static_selectorELNS0_4arch9wavefront6targetE1EEEvSD_,"axG",@progbits,_ZN7rocprim17ROCPRIM_400000_NS6detail17trampoline_kernelINS0_14default_configENS1_22reduce_config_selectorI4bboxEEZNS1_11reduce_implILb1ES3_PS5_S8_S5_14bbox_reductionEE10hipError_tPvRmT1_T2_T3_mT4_P12ihipStream_tbEUlT_E1_NS1_11comp_targetILNS1_3genE8ELNS1_11target_archE1030ELNS1_3gpuE2ELNS1_3repE0EEENS1_30default_config_static_selectorELNS0_4arch9wavefront6targetE1EEEvSD_,comdat
.Lfunc_end19:
	.size	_ZN7rocprim17ROCPRIM_400000_NS6detail17trampoline_kernelINS0_14default_configENS1_22reduce_config_selectorI4bboxEEZNS1_11reduce_implILb1ES3_PS5_S8_S5_14bbox_reductionEE10hipError_tPvRmT1_T2_T3_mT4_P12ihipStream_tbEUlT_E1_NS1_11comp_targetILNS1_3genE8ELNS1_11target_archE1030ELNS1_3gpuE2ELNS1_3repE0EEENS1_30default_config_static_selectorELNS0_4arch9wavefront6targetE1EEEvSD_, .Lfunc_end19-_ZN7rocprim17ROCPRIM_400000_NS6detail17trampoline_kernelINS0_14default_configENS1_22reduce_config_selectorI4bboxEEZNS1_11reduce_implILb1ES3_PS5_S8_S5_14bbox_reductionEE10hipError_tPvRmT1_T2_T3_mT4_P12ihipStream_tbEUlT_E1_NS1_11comp_targetILNS1_3genE8ELNS1_11target_archE1030ELNS1_3gpuE2ELNS1_3repE0EEENS1_30default_config_static_selectorELNS0_4arch9wavefront6targetE1EEEvSD_
                                        ; -- End function
	.set _ZN7rocprim17ROCPRIM_400000_NS6detail17trampoline_kernelINS0_14default_configENS1_22reduce_config_selectorI4bboxEEZNS1_11reduce_implILb1ES3_PS5_S8_S5_14bbox_reductionEE10hipError_tPvRmT1_T2_T3_mT4_P12ihipStream_tbEUlT_E1_NS1_11comp_targetILNS1_3genE8ELNS1_11target_archE1030ELNS1_3gpuE2ELNS1_3repE0EEENS1_30default_config_static_selectorELNS0_4arch9wavefront6targetE1EEEvSD_.num_vgpr, 0
	.set _ZN7rocprim17ROCPRIM_400000_NS6detail17trampoline_kernelINS0_14default_configENS1_22reduce_config_selectorI4bboxEEZNS1_11reduce_implILb1ES3_PS5_S8_S5_14bbox_reductionEE10hipError_tPvRmT1_T2_T3_mT4_P12ihipStream_tbEUlT_E1_NS1_11comp_targetILNS1_3genE8ELNS1_11target_archE1030ELNS1_3gpuE2ELNS1_3repE0EEENS1_30default_config_static_selectorELNS0_4arch9wavefront6targetE1EEEvSD_.num_agpr, 0
	.set _ZN7rocprim17ROCPRIM_400000_NS6detail17trampoline_kernelINS0_14default_configENS1_22reduce_config_selectorI4bboxEEZNS1_11reduce_implILb1ES3_PS5_S8_S5_14bbox_reductionEE10hipError_tPvRmT1_T2_T3_mT4_P12ihipStream_tbEUlT_E1_NS1_11comp_targetILNS1_3genE8ELNS1_11target_archE1030ELNS1_3gpuE2ELNS1_3repE0EEENS1_30default_config_static_selectorELNS0_4arch9wavefront6targetE1EEEvSD_.numbered_sgpr, 0
	.set _ZN7rocprim17ROCPRIM_400000_NS6detail17trampoline_kernelINS0_14default_configENS1_22reduce_config_selectorI4bboxEEZNS1_11reduce_implILb1ES3_PS5_S8_S5_14bbox_reductionEE10hipError_tPvRmT1_T2_T3_mT4_P12ihipStream_tbEUlT_E1_NS1_11comp_targetILNS1_3genE8ELNS1_11target_archE1030ELNS1_3gpuE2ELNS1_3repE0EEENS1_30default_config_static_selectorELNS0_4arch9wavefront6targetE1EEEvSD_.num_named_barrier, 0
	.set _ZN7rocprim17ROCPRIM_400000_NS6detail17trampoline_kernelINS0_14default_configENS1_22reduce_config_selectorI4bboxEEZNS1_11reduce_implILb1ES3_PS5_S8_S5_14bbox_reductionEE10hipError_tPvRmT1_T2_T3_mT4_P12ihipStream_tbEUlT_E1_NS1_11comp_targetILNS1_3genE8ELNS1_11target_archE1030ELNS1_3gpuE2ELNS1_3repE0EEENS1_30default_config_static_selectorELNS0_4arch9wavefront6targetE1EEEvSD_.private_seg_size, 0
	.set _ZN7rocprim17ROCPRIM_400000_NS6detail17trampoline_kernelINS0_14default_configENS1_22reduce_config_selectorI4bboxEEZNS1_11reduce_implILb1ES3_PS5_S8_S5_14bbox_reductionEE10hipError_tPvRmT1_T2_T3_mT4_P12ihipStream_tbEUlT_E1_NS1_11comp_targetILNS1_3genE8ELNS1_11target_archE1030ELNS1_3gpuE2ELNS1_3repE0EEENS1_30default_config_static_selectorELNS0_4arch9wavefront6targetE1EEEvSD_.uses_vcc, 0
	.set _ZN7rocprim17ROCPRIM_400000_NS6detail17trampoline_kernelINS0_14default_configENS1_22reduce_config_selectorI4bboxEEZNS1_11reduce_implILb1ES3_PS5_S8_S5_14bbox_reductionEE10hipError_tPvRmT1_T2_T3_mT4_P12ihipStream_tbEUlT_E1_NS1_11comp_targetILNS1_3genE8ELNS1_11target_archE1030ELNS1_3gpuE2ELNS1_3repE0EEENS1_30default_config_static_selectorELNS0_4arch9wavefront6targetE1EEEvSD_.uses_flat_scratch, 0
	.set _ZN7rocprim17ROCPRIM_400000_NS6detail17trampoline_kernelINS0_14default_configENS1_22reduce_config_selectorI4bboxEEZNS1_11reduce_implILb1ES3_PS5_S8_S5_14bbox_reductionEE10hipError_tPvRmT1_T2_T3_mT4_P12ihipStream_tbEUlT_E1_NS1_11comp_targetILNS1_3genE8ELNS1_11target_archE1030ELNS1_3gpuE2ELNS1_3repE0EEENS1_30default_config_static_selectorELNS0_4arch9wavefront6targetE1EEEvSD_.has_dyn_sized_stack, 0
	.set _ZN7rocprim17ROCPRIM_400000_NS6detail17trampoline_kernelINS0_14default_configENS1_22reduce_config_selectorI4bboxEEZNS1_11reduce_implILb1ES3_PS5_S8_S5_14bbox_reductionEE10hipError_tPvRmT1_T2_T3_mT4_P12ihipStream_tbEUlT_E1_NS1_11comp_targetILNS1_3genE8ELNS1_11target_archE1030ELNS1_3gpuE2ELNS1_3repE0EEENS1_30default_config_static_selectorELNS0_4arch9wavefront6targetE1EEEvSD_.has_recursion, 0
	.set _ZN7rocprim17ROCPRIM_400000_NS6detail17trampoline_kernelINS0_14default_configENS1_22reduce_config_selectorI4bboxEEZNS1_11reduce_implILb1ES3_PS5_S8_S5_14bbox_reductionEE10hipError_tPvRmT1_T2_T3_mT4_P12ihipStream_tbEUlT_E1_NS1_11comp_targetILNS1_3genE8ELNS1_11target_archE1030ELNS1_3gpuE2ELNS1_3repE0EEENS1_30default_config_static_selectorELNS0_4arch9wavefront6targetE1EEEvSD_.has_indirect_call, 0
	.section	.AMDGPU.csdata,"",@progbits
; Kernel info:
; codeLenInByte = 0
; TotalNumSgprs: 4
; NumVgprs: 0
; ScratchSize: 0
; MemoryBound: 0
; FloatMode: 240
; IeeeMode: 1
; LDSByteSize: 0 bytes/workgroup (compile time only)
; SGPRBlocks: 0
; VGPRBlocks: 0
; NumSGPRsForWavesPerEU: 4
; NumVGPRsForWavesPerEU: 1
; Occupancy: 10
; WaveLimiterHint : 0
; COMPUTE_PGM_RSRC2:SCRATCH_EN: 0
; COMPUTE_PGM_RSRC2:USER_SGPR: 6
; COMPUTE_PGM_RSRC2:TRAP_HANDLER: 0
; COMPUTE_PGM_RSRC2:TGID_X_EN: 1
; COMPUTE_PGM_RSRC2:TGID_Y_EN: 0
; COMPUTE_PGM_RSRC2:TGID_Z_EN: 0
; COMPUTE_PGM_RSRC2:TIDIG_COMP_CNT: 0
	.section	.text._ZN7rocprim17ROCPRIM_400000_NS6detail17trampoline_kernelINS0_14default_configENS1_22reduce_config_selectorI7point2dEEZNS1_11reduce_implILb1ES3_N6thrust23THRUST_200600_302600_NS6detail15normal_iteratorINS9_10device_ptrIS5_EEEEP4bboxSF_14bbox_reductionEE10hipError_tPvRmT1_T2_T3_mT4_P12ihipStream_tbEUlT_E0_NS1_11comp_targetILNS1_3genE0ELNS1_11target_archE4294967295ELNS1_3gpuE0ELNS1_3repE0EEENS1_30default_config_static_selectorELNS0_4arch9wavefront6targetE1EEEvSL_,"axG",@progbits,_ZN7rocprim17ROCPRIM_400000_NS6detail17trampoline_kernelINS0_14default_configENS1_22reduce_config_selectorI7point2dEEZNS1_11reduce_implILb1ES3_N6thrust23THRUST_200600_302600_NS6detail15normal_iteratorINS9_10device_ptrIS5_EEEEP4bboxSF_14bbox_reductionEE10hipError_tPvRmT1_T2_T3_mT4_P12ihipStream_tbEUlT_E0_NS1_11comp_targetILNS1_3genE0ELNS1_11target_archE4294967295ELNS1_3gpuE0ELNS1_3repE0EEENS1_30default_config_static_selectorELNS0_4arch9wavefront6targetE1EEEvSL_,comdat
	.protected	_ZN7rocprim17ROCPRIM_400000_NS6detail17trampoline_kernelINS0_14default_configENS1_22reduce_config_selectorI7point2dEEZNS1_11reduce_implILb1ES3_N6thrust23THRUST_200600_302600_NS6detail15normal_iteratorINS9_10device_ptrIS5_EEEEP4bboxSF_14bbox_reductionEE10hipError_tPvRmT1_T2_T3_mT4_P12ihipStream_tbEUlT_E0_NS1_11comp_targetILNS1_3genE0ELNS1_11target_archE4294967295ELNS1_3gpuE0ELNS1_3repE0EEENS1_30default_config_static_selectorELNS0_4arch9wavefront6targetE1EEEvSL_ ; -- Begin function _ZN7rocprim17ROCPRIM_400000_NS6detail17trampoline_kernelINS0_14default_configENS1_22reduce_config_selectorI7point2dEEZNS1_11reduce_implILb1ES3_N6thrust23THRUST_200600_302600_NS6detail15normal_iteratorINS9_10device_ptrIS5_EEEEP4bboxSF_14bbox_reductionEE10hipError_tPvRmT1_T2_T3_mT4_P12ihipStream_tbEUlT_E0_NS1_11comp_targetILNS1_3genE0ELNS1_11target_archE4294967295ELNS1_3gpuE0ELNS1_3repE0EEENS1_30default_config_static_selectorELNS0_4arch9wavefront6targetE1EEEvSL_
	.globl	_ZN7rocprim17ROCPRIM_400000_NS6detail17trampoline_kernelINS0_14default_configENS1_22reduce_config_selectorI7point2dEEZNS1_11reduce_implILb1ES3_N6thrust23THRUST_200600_302600_NS6detail15normal_iteratorINS9_10device_ptrIS5_EEEEP4bboxSF_14bbox_reductionEE10hipError_tPvRmT1_T2_T3_mT4_P12ihipStream_tbEUlT_E0_NS1_11comp_targetILNS1_3genE0ELNS1_11target_archE4294967295ELNS1_3gpuE0ELNS1_3repE0EEENS1_30default_config_static_selectorELNS0_4arch9wavefront6targetE1EEEvSL_
	.p2align	8
	.type	_ZN7rocprim17ROCPRIM_400000_NS6detail17trampoline_kernelINS0_14default_configENS1_22reduce_config_selectorI7point2dEEZNS1_11reduce_implILb1ES3_N6thrust23THRUST_200600_302600_NS6detail15normal_iteratorINS9_10device_ptrIS5_EEEEP4bboxSF_14bbox_reductionEE10hipError_tPvRmT1_T2_T3_mT4_P12ihipStream_tbEUlT_E0_NS1_11comp_targetILNS1_3genE0ELNS1_11target_archE4294967295ELNS1_3gpuE0ELNS1_3repE0EEENS1_30default_config_static_selectorELNS0_4arch9wavefront6targetE1EEEvSL_,@function
_ZN7rocprim17ROCPRIM_400000_NS6detail17trampoline_kernelINS0_14default_configENS1_22reduce_config_selectorI7point2dEEZNS1_11reduce_implILb1ES3_N6thrust23THRUST_200600_302600_NS6detail15normal_iteratorINS9_10device_ptrIS5_EEEEP4bboxSF_14bbox_reductionEE10hipError_tPvRmT1_T2_T3_mT4_P12ihipStream_tbEUlT_E0_NS1_11comp_targetILNS1_3genE0ELNS1_11target_archE4294967295ELNS1_3gpuE0ELNS1_3repE0EEENS1_30default_config_static_selectorELNS0_4arch9wavefront6targetE1EEEvSL_: ; @_ZN7rocprim17ROCPRIM_400000_NS6detail17trampoline_kernelINS0_14default_configENS1_22reduce_config_selectorI7point2dEEZNS1_11reduce_implILb1ES3_N6thrust23THRUST_200600_302600_NS6detail15normal_iteratorINS9_10device_ptrIS5_EEEEP4bboxSF_14bbox_reductionEE10hipError_tPvRmT1_T2_T3_mT4_P12ihipStream_tbEUlT_E0_NS1_11comp_targetILNS1_3genE0ELNS1_11target_archE4294967295ELNS1_3gpuE0ELNS1_3repE0EEENS1_30default_config_static_selectorELNS0_4arch9wavefront6targetE1EEEvSL_
; %bb.0:
	.section	.rodata,"a",@progbits
	.p2align	6, 0x0
	.amdhsa_kernel _ZN7rocprim17ROCPRIM_400000_NS6detail17trampoline_kernelINS0_14default_configENS1_22reduce_config_selectorI7point2dEEZNS1_11reduce_implILb1ES3_N6thrust23THRUST_200600_302600_NS6detail15normal_iteratorINS9_10device_ptrIS5_EEEEP4bboxSF_14bbox_reductionEE10hipError_tPvRmT1_T2_T3_mT4_P12ihipStream_tbEUlT_E0_NS1_11comp_targetILNS1_3genE0ELNS1_11target_archE4294967295ELNS1_3gpuE0ELNS1_3repE0EEENS1_30default_config_static_selectorELNS0_4arch9wavefront6targetE1EEEvSL_
		.amdhsa_group_segment_fixed_size 0
		.amdhsa_private_segment_fixed_size 0
		.amdhsa_kernarg_size 72
		.amdhsa_user_sgpr_count 6
		.amdhsa_user_sgpr_private_segment_buffer 1
		.amdhsa_user_sgpr_dispatch_ptr 0
		.amdhsa_user_sgpr_queue_ptr 0
		.amdhsa_user_sgpr_kernarg_segment_ptr 1
		.amdhsa_user_sgpr_dispatch_id 0
		.amdhsa_user_sgpr_flat_scratch_init 0
		.amdhsa_user_sgpr_private_segment_size 0
		.amdhsa_uses_dynamic_stack 0
		.amdhsa_system_sgpr_private_segment_wavefront_offset 0
		.amdhsa_system_sgpr_workgroup_id_x 1
		.amdhsa_system_sgpr_workgroup_id_y 0
		.amdhsa_system_sgpr_workgroup_id_z 0
		.amdhsa_system_sgpr_workgroup_info 0
		.amdhsa_system_vgpr_workitem_id 0
		.amdhsa_next_free_vgpr 1
		.amdhsa_next_free_sgpr 0
		.amdhsa_reserve_vcc 0
		.amdhsa_reserve_flat_scratch 0
		.amdhsa_float_round_mode_32 0
		.amdhsa_float_round_mode_16_64 0
		.amdhsa_float_denorm_mode_32 3
		.amdhsa_float_denorm_mode_16_64 3
		.amdhsa_dx10_clamp 1
		.amdhsa_ieee_mode 1
		.amdhsa_fp16_overflow 0
		.amdhsa_exception_fp_ieee_invalid_op 0
		.amdhsa_exception_fp_denorm_src 0
		.amdhsa_exception_fp_ieee_div_zero 0
		.amdhsa_exception_fp_ieee_overflow 0
		.amdhsa_exception_fp_ieee_underflow 0
		.amdhsa_exception_fp_ieee_inexact 0
		.amdhsa_exception_int_div_zero 0
	.end_amdhsa_kernel
	.section	.text._ZN7rocprim17ROCPRIM_400000_NS6detail17trampoline_kernelINS0_14default_configENS1_22reduce_config_selectorI7point2dEEZNS1_11reduce_implILb1ES3_N6thrust23THRUST_200600_302600_NS6detail15normal_iteratorINS9_10device_ptrIS5_EEEEP4bboxSF_14bbox_reductionEE10hipError_tPvRmT1_T2_T3_mT4_P12ihipStream_tbEUlT_E0_NS1_11comp_targetILNS1_3genE0ELNS1_11target_archE4294967295ELNS1_3gpuE0ELNS1_3repE0EEENS1_30default_config_static_selectorELNS0_4arch9wavefront6targetE1EEEvSL_,"axG",@progbits,_ZN7rocprim17ROCPRIM_400000_NS6detail17trampoline_kernelINS0_14default_configENS1_22reduce_config_selectorI7point2dEEZNS1_11reduce_implILb1ES3_N6thrust23THRUST_200600_302600_NS6detail15normal_iteratorINS9_10device_ptrIS5_EEEEP4bboxSF_14bbox_reductionEE10hipError_tPvRmT1_T2_T3_mT4_P12ihipStream_tbEUlT_E0_NS1_11comp_targetILNS1_3genE0ELNS1_11target_archE4294967295ELNS1_3gpuE0ELNS1_3repE0EEENS1_30default_config_static_selectorELNS0_4arch9wavefront6targetE1EEEvSL_,comdat
.Lfunc_end20:
	.size	_ZN7rocprim17ROCPRIM_400000_NS6detail17trampoline_kernelINS0_14default_configENS1_22reduce_config_selectorI7point2dEEZNS1_11reduce_implILb1ES3_N6thrust23THRUST_200600_302600_NS6detail15normal_iteratorINS9_10device_ptrIS5_EEEEP4bboxSF_14bbox_reductionEE10hipError_tPvRmT1_T2_T3_mT4_P12ihipStream_tbEUlT_E0_NS1_11comp_targetILNS1_3genE0ELNS1_11target_archE4294967295ELNS1_3gpuE0ELNS1_3repE0EEENS1_30default_config_static_selectorELNS0_4arch9wavefront6targetE1EEEvSL_, .Lfunc_end20-_ZN7rocprim17ROCPRIM_400000_NS6detail17trampoline_kernelINS0_14default_configENS1_22reduce_config_selectorI7point2dEEZNS1_11reduce_implILb1ES3_N6thrust23THRUST_200600_302600_NS6detail15normal_iteratorINS9_10device_ptrIS5_EEEEP4bboxSF_14bbox_reductionEE10hipError_tPvRmT1_T2_T3_mT4_P12ihipStream_tbEUlT_E0_NS1_11comp_targetILNS1_3genE0ELNS1_11target_archE4294967295ELNS1_3gpuE0ELNS1_3repE0EEENS1_30default_config_static_selectorELNS0_4arch9wavefront6targetE1EEEvSL_
                                        ; -- End function
	.set _ZN7rocprim17ROCPRIM_400000_NS6detail17trampoline_kernelINS0_14default_configENS1_22reduce_config_selectorI7point2dEEZNS1_11reduce_implILb1ES3_N6thrust23THRUST_200600_302600_NS6detail15normal_iteratorINS9_10device_ptrIS5_EEEEP4bboxSF_14bbox_reductionEE10hipError_tPvRmT1_T2_T3_mT4_P12ihipStream_tbEUlT_E0_NS1_11comp_targetILNS1_3genE0ELNS1_11target_archE4294967295ELNS1_3gpuE0ELNS1_3repE0EEENS1_30default_config_static_selectorELNS0_4arch9wavefront6targetE1EEEvSL_.num_vgpr, 0
	.set _ZN7rocprim17ROCPRIM_400000_NS6detail17trampoline_kernelINS0_14default_configENS1_22reduce_config_selectorI7point2dEEZNS1_11reduce_implILb1ES3_N6thrust23THRUST_200600_302600_NS6detail15normal_iteratorINS9_10device_ptrIS5_EEEEP4bboxSF_14bbox_reductionEE10hipError_tPvRmT1_T2_T3_mT4_P12ihipStream_tbEUlT_E0_NS1_11comp_targetILNS1_3genE0ELNS1_11target_archE4294967295ELNS1_3gpuE0ELNS1_3repE0EEENS1_30default_config_static_selectorELNS0_4arch9wavefront6targetE1EEEvSL_.num_agpr, 0
	.set _ZN7rocprim17ROCPRIM_400000_NS6detail17trampoline_kernelINS0_14default_configENS1_22reduce_config_selectorI7point2dEEZNS1_11reduce_implILb1ES3_N6thrust23THRUST_200600_302600_NS6detail15normal_iteratorINS9_10device_ptrIS5_EEEEP4bboxSF_14bbox_reductionEE10hipError_tPvRmT1_T2_T3_mT4_P12ihipStream_tbEUlT_E0_NS1_11comp_targetILNS1_3genE0ELNS1_11target_archE4294967295ELNS1_3gpuE0ELNS1_3repE0EEENS1_30default_config_static_selectorELNS0_4arch9wavefront6targetE1EEEvSL_.numbered_sgpr, 0
	.set _ZN7rocprim17ROCPRIM_400000_NS6detail17trampoline_kernelINS0_14default_configENS1_22reduce_config_selectorI7point2dEEZNS1_11reduce_implILb1ES3_N6thrust23THRUST_200600_302600_NS6detail15normal_iteratorINS9_10device_ptrIS5_EEEEP4bboxSF_14bbox_reductionEE10hipError_tPvRmT1_T2_T3_mT4_P12ihipStream_tbEUlT_E0_NS1_11comp_targetILNS1_3genE0ELNS1_11target_archE4294967295ELNS1_3gpuE0ELNS1_3repE0EEENS1_30default_config_static_selectorELNS0_4arch9wavefront6targetE1EEEvSL_.num_named_barrier, 0
	.set _ZN7rocprim17ROCPRIM_400000_NS6detail17trampoline_kernelINS0_14default_configENS1_22reduce_config_selectorI7point2dEEZNS1_11reduce_implILb1ES3_N6thrust23THRUST_200600_302600_NS6detail15normal_iteratorINS9_10device_ptrIS5_EEEEP4bboxSF_14bbox_reductionEE10hipError_tPvRmT1_T2_T3_mT4_P12ihipStream_tbEUlT_E0_NS1_11comp_targetILNS1_3genE0ELNS1_11target_archE4294967295ELNS1_3gpuE0ELNS1_3repE0EEENS1_30default_config_static_selectorELNS0_4arch9wavefront6targetE1EEEvSL_.private_seg_size, 0
	.set _ZN7rocprim17ROCPRIM_400000_NS6detail17trampoline_kernelINS0_14default_configENS1_22reduce_config_selectorI7point2dEEZNS1_11reduce_implILb1ES3_N6thrust23THRUST_200600_302600_NS6detail15normal_iteratorINS9_10device_ptrIS5_EEEEP4bboxSF_14bbox_reductionEE10hipError_tPvRmT1_T2_T3_mT4_P12ihipStream_tbEUlT_E0_NS1_11comp_targetILNS1_3genE0ELNS1_11target_archE4294967295ELNS1_3gpuE0ELNS1_3repE0EEENS1_30default_config_static_selectorELNS0_4arch9wavefront6targetE1EEEvSL_.uses_vcc, 0
	.set _ZN7rocprim17ROCPRIM_400000_NS6detail17trampoline_kernelINS0_14default_configENS1_22reduce_config_selectorI7point2dEEZNS1_11reduce_implILb1ES3_N6thrust23THRUST_200600_302600_NS6detail15normal_iteratorINS9_10device_ptrIS5_EEEEP4bboxSF_14bbox_reductionEE10hipError_tPvRmT1_T2_T3_mT4_P12ihipStream_tbEUlT_E0_NS1_11comp_targetILNS1_3genE0ELNS1_11target_archE4294967295ELNS1_3gpuE0ELNS1_3repE0EEENS1_30default_config_static_selectorELNS0_4arch9wavefront6targetE1EEEvSL_.uses_flat_scratch, 0
	.set _ZN7rocprim17ROCPRIM_400000_NS6detail17trampoline_kernelINS0_14default_configENS1_22reduce_config_selectorI7point2dEEZNS1_11reduce_implILb1ES3_N6thrust23THRUST_200600_302600_NS6detail15normal_iteratorINS9_10device_ptrIS5_EEEEP4bboxSF_14bbox_reductionEE10hipError_tPvRmT1_T2_T3_mT4_P12ihipStream_tbEUlT_E0_NS1_11comp_targetILNS1_3genE0ELNS1_11target_archE4294967295ELNS1_3gpuE0ELNS1_3repE0EEENS1_30default_config_static_selectorELNS0_4arch9wavefront6targetE1EEEvSL_.has_dyn_sized_stack, 0
	.set _ZN7rocprim17ROCPRIM_400000_NS6detail17trampoline_kernelINS0_14default_configENS1_22reduce_config_selectorI7point2dEEZNS1_11reduce_implILb1ES3_N6thrust23THRUST_200600_302600_NS6detail15normal_iteratorINS9_10device_ptrIS5_EEEEP4bboxSF_14bbox_reductionEE10hipError_tPvRmT1_T2_T3_mT4_P12ihipStream_tbEUlT_E0_NS1_11comp_targetILNS1_3genE0ELNS1_11target_archE4294967295ELNS1_3gpuE0ELNS1_3repE0EEENS1_30default_config_static_selectorELNS0_4arch9wavefront6targetE1EEEvSL_.has_recursion, 0
	.set _ZN7rocprim17ROCPRIM_400000_NS6detail17trampoline_kernelINS0_14default_configENS1_22reduce_config_selectorI7point2dEEZNS1_11reduce_implILb1ES3_N6thrust23THRUST_200600_302600_NS6detail15normal_iteratorINS9_10device_ptrIS5_EEEEP4bboxSF_14bbox_reductionEE10hipError_tPvRmT1_T2_T3_mT4_P12ihipStream_tbEUlT_E0_NS1_11comp_targetILNS1_3genE0ELNS1_11target_archE4294967295ELNS1_3gpuE0ELNS1_3repE0EEENS1_30default_config_static_selectorELNS0_4arch9wavefront6targetE1EEEvSL_.has_indirect_call, 0
	.section	.AMDGPU.csdata,"",@progbits
; Kernel info:
; codeLenInByte = 0
; TotalNumSgprs: 4
; NumVgprs: 0
; ScratchSize: 0
; MemoryBound: 0
; FloatMode: 240
; IeeeMode: 1
; LDSByteSize: 0 bytes/workgroup (compile time only)
; SGPRBlocks: 0
; VGPRBlocks: 0
; NumSGPRsForWavesPerEU: 4
; NumVGPRsForWavesPerEU: 1
; Occupancy: 10
; WaveLimiterHint : 0
; COMPUTE_PGM_RSRC2:SCRATCH_EN: 0
; COMPUTE_PGM_RSRC2:USER_SGPR: 6
; COMPUTE_PGM_RSRC2:TRAP_HANDLER: 0
; COMPUTE_PGM_RSRC2:TGID_X_EN: 1
; COMPUTE_PGM_RSRC2:TGID_Y_EN: 0
; COMPUTE_PGM_RSRC2:TGID_Z_EN: 0
; COMPUTE_PGM_RSRC2:TIDIG_COMP_CNT: 0
	.section	.text._ZN7rocprim17ROCPRIM_400000_NS6detail17trampoline_kernelINS0_14default_configENS1_22reduce_config_selectorI7point2dEEZNS1_11reduce_implILb1ES3_N6thrust23THRUST_200600_302600_NS6detail15normal_iteratorINS9_10device_ptrIS5_EEEEP4bboxSF_14bbox_reductionEE10hipError_tPvRmT1_T2_T3_mT4_P12ihipStream_tbEUlT_E0_NS1_11comp_targetILNS1_3genE5ELNS1_11target_archE942ELNS1_3gpuE9ELNS1_3repE0EEENS1_30default_config_static_selectorELNS0_4arch9wavefront6targetE1EEEvSL_,"axG",@progbits,_ZN7rocprim17ROCPRIM_400000_NS6detail17trampoline_kernelINS0_14default_configENS1_22reduce_config_selectorI7point2dEEZNS1_11reduce_implILb1ES3_N6thrust23THRUST_200600_302600_NS6detail15normal_iteratorINS9_10device_ptrIS5_EEEEP4bboxSF_14bbox_reductionEE10hipError_tPvRmT1_T2_T3_mT4_P12ihipStream_tbEUlT_E0_NS1_11comp_targetILNS1_3genE5ELNS1_11target_archE942ELNS1_3gpuE9ELNS1_3repE0EEENS1_30default_config_static_selectorELNS0_4arch9wavefront6targetE1EEEvSL_,comdat
	.protected	_ZN7rocprim17ROCPRIM_400000_NS6detail17trampoline_kernelINS0_14default_configENS1_22reduce_config_selectorI7point2dEEZNS1_11reduce_implILb1ES3_N6thrust23THRUST_200600_302600_NS6detail15normal_iteratorINS9_10device_ptrIS5_EEEEP4bboxSF_14bbox_reductionEE10hipError_tPvRmT1_T2_T3_mT4_P12ihipStream_tbEUlT_E0_NS1_11comp_targetILNS1_3genE5ELNS1_11target_archE942ELNS1_3gpuE9ELNS1_3repE0EEENS1_30default_config_static_selectorELNS0_4arch9wavefront6targetE1EEEvSL_ ; -- Begin function _ZN7rocprim17ROCPRIM_400000_NS6detail17trampoline_kernelINS0_14default_configENS1_22reduce_config_selectorI7point2dEEZNS1_11reduce_implILb1ES3_N6thrust23THRUST_200600_302600_NS6detail15normal_iteratorINS9_10device_ptrIS5_EEEEP4bboxSF_14bbox_reductionEE10hipError_tPvRmT1_T2_T3_mT4_P12ihipStream_tbEUlT_E0_NS1_11comp_targetILNS1_3genE5ELNS1_11target_archE942ELNS1_3gpuE9ELNS1_3repE0EEENS1_30default_config_static_selectorELNS0_4arch9wavefront6targetE1EEEvSL_
	.globl	_ZN7rocprim17ROCPRIM_400000_NS6detail17trampoline_kernelINS0_14default_configENS1_22reduce_config_selectorI7point2dEEZNS1_11reduce_implILb1ES3_N6thrust23THRUST_200600_302600_NS6detail15normal_iteratorINS9_10device_ptrIS5_EEEEP4bboxSF_14bbox_reductionEE10hipError_tPvRmT1_T2_T3_mT4_P12ihipStream_tbEUlT_E0_NS1_11comp_targetILNS1_3genE5ELNS1_11target_archE942ELNS1_3gpuE9ELNS1_3repE0EEENS1_30default_config_static_selectorELNS0_4arch9wavefront6targetE1EEEvSL_
	.p2align	8
	.type	_ZN7rocprim17ROCPRIM_400000_NS6detail17trampoline_kernelINS0_14default_configENS1_22reduce_config_selectorI7point2dEEZNS1_11reduce_implILb1ES3_N6thrust23THRUST_200600_302600_NS6detail15normal_iteratorINS9_10device_ptrIS5_EEEEP4bboxSF_14bbox_reductionEE10hipError_tPvRmT1_T2_T3_mT4_P12ihipStream_tbEUlT_E0_NS1_11comp_targetILNS1_3genE5ELNS1_11target_archE942ELNS1_3gpuE9ELNS1_3repE0EEENS1_30default_config_static_selectorELNS0_4arch9wavefront6targetE1EEEvSL_,@function
_ZN7rocprim17ROCPRIM_400000_NS6detail17trampoline_kernelINS0_14default_configENS1_22reduce_config_selectorI7point2dEEZNS1_11reduce_implILb1ES3_N6thrust23THRUST_200600_302600_NS6detail15normal_iteratorINS9_10device_ptrIS5_EEEEP4bboxSF_14bbox_reductionEE10hipError_tPvRmT1_T2_T3_mT4_P12ihipStream_tbEUlT_E0_NS1_11comp_targetILNS1_3genE5ELNS1_11target_archE942ELNS1_3gpuE9ELNS1_3repE0EEENS1_30default_config_static_selectorELNS0_4arch9wavefront6targetE1EEEvSL_: ; @_ZN7rocprim17ROCPRIM_400000_NS6detail17trampoline_kernelINS0_14default_configENS1_22reduce_config_selectorI7point2dEEZNS1_11reduce_implILb1ES3_N6thrust23THRUST_200600_302600_NS6detail15normal_iteratorINS9_10device_ptrIS5_EEEEP4bboxSF_14bbox_reductionEE10hipError_tPvRmT1_T2_T3_mT4_P12ihipStream_tbEUlT_E0_NS1_11comp_targetILNS1_3genE5ELNS1_11target_archE942ELNS1_3gpuE9ELNS1_3repE0EEENS1_30default_config_static_selectorELNS0_4arch9wavefront6targetE1EEEvSL_
; %bb.0:
	.section	.rodata,"a",@progbits
	.p2align	6, 0x0
	.amdhsa_kernel _ZN7rocprim17ROCPRIM_400000_NS6detail17trampoline_kernelINS0_14default_configENS1_22reduce_config_selectorI7point2dEEZNS1_11reduce_implILb1ES3_N6thrust23THRUST_200600_302600_NS6detail15normal_iteratorINS9_10device_ptrIS5_EEEEP4bboxSF_14bbox_reductionEE10hipError_tPvRmT1_T2_T3_mT4_P12ihipStream_tbEUlT_E0_NS1_11comp_targetILNS1_3genE5ELNS1_11target_archE942ELNS1_3gpuE9ELNS1_3repE0EEENS1_30default_config_static_selectorELNS0_4arch9wavefront6targetE1EEEvSL_
		.amdhsa_group_segment_fixed_size 0
		.amdhsa_private_segment_fixed_size 0
		.amdhsa_kernarg_size 72
		.amdhsa_user_sgpr_count 6
		.amdhsa_user_sgpr_private_segment_buffer 1
		.amdhsa_user_sgpr_dispatch_ptr 0
		.amdhsa_user_sgpr_queue_ptr 0
		.amdhsa_user_sgpr_kernarg_segment_ptr 1
		.amdhsa_user_sgpr_dispatch_id 0
		.amdhsa_user_sgpr_flat_scratch_init 0
		.amdhsa_user_sgpr_private_segment_size 0
		.amdhsa_uses_dynamic_stack 0
		.amdhsa_system_sgpr_private_segment_wavefront_offset 0
		.amdhsa_system_sgpr_workgroup_id_x 1
		.amdhsa_system_sgpr_workgroup_id_y 0
		.amdhsa_system_sgpr_workgroup_id_z 0
		.amdhsa_system_sgpr_workgroup_info 0
		.amdhsa_system_vgpr_workitem_id 0
		.amdhsa_next_free_vgpr 1
		.amdhsa_next_free_sgpr 0
		.amdhsa_reserve_vcc 0
		.amdhsa_reserve_flat_scratch 0
		.amdhsa_float_round_mode_32 0
		.amdhsa_float_round_mode_16_64 0
		.amdhsa_float_denorm_mode_32 3
		.amdhsa_float_denorm_mode_16_64 3
		.amdhsa_dx10_clamp 1
		.amdhsa_ieee_mode 1
		.amdhsa_fp16_overflow 0
		.amdhsa_exception_fp_ieee_invalid_op 0
		.amdhsa_exception_fp_denorm_src 0
		.amdhsa_exception_fp_ieee_div_zero 0
		.amdhsa_exception_fp_ieee_overflow 0
		.amdhsa_exception_fp_ieee_underflow 0
		.amdhsa_exception_fp_ieee_inexact 0
		.amdhsa_exception_int_div_zero 0
	.end_amdhsa_kernel
	.section	.text._ZN7rocprim17ROCPRIM_400000_NS6detail17trampoline_kernelINS0_14default_configENS1_22reduce_config_selectorI7point2dEEZNS1_11reduce_implILb1ES3_N6thrust23THRUST_200600_302600_NS6detail15normal_iteratorINS9_10device_ptrIS5_EEEEP4bboxSF_14bbox_reductionEE10hipError_tPvRmT1_T2_T3_mT4_P12ihipStream_tbEUlT_E0_NS1_11comp_targetILNS1_3genE5ELNS1_11target_archE942ELNS1_3gpuE9ELNS1_3repE0EEENS1_30default_config_static_selectorELNS0_4arch9wavefront6targetE1EEEvSL_,"axG",@progbits,_ZN7rocprim17ROCPRIM_400000_NS6detail17trampoline_kernelINS0_14default_configENS1_22reduce_config_selectorI7point2dEEZNS1_11reduce_implILb1ES3_N6thrust23THRUST_200600_302600_NS6detail15normal_iteratorINS9_10device_ptrIS5_EEEEP4bboxSF_14bbox_reductionEE10hipError_tPvRmT1_T2_T3_mT4_P12ihipStream_tbEUlT_E0_NS1_11comp_targetILNS1_3genE5ELNS1_11target_archE942ELNS1_3gpuE9ELNS1_3repE0EEENS1_30default_config_static_selectorELNS0_4arch9wavefront6targetE1EEEvSL_,comdat
.Lfunc_end21:
	.size	_ZN7rocprim17ROCPRIM_400000_NS6detail17trampoline_kernelINS0_14default_configENS1_22reduce_config_selectorI7point2dEEZNS1_11reduce_implILb1ES3_N6thrust23THRUST_200600_302600_NS6detail15normal_iteratorINS9_10device_ptrIS5_EEEEP4bboxSF_14bbox_reductionEE10hipError_tPvRmT1_T2_T3_mT4_P12ihipStream_tbEUlT_E0_NS1_11comp_targetILNS1_3genE5ELNS1_11target_archE942ELNS1_3gpuE9ELNS1_3repE0EEENS1_30default_config_static_selectorELNS0_4arch9wavefront6targetE1EEEvSL_, .Lfunc_end21-_ZN7rocprim17ROCPRIM_400000_NS6detail17trampoline_kernelINS0_14default_configENS1_22reduce_config_selectorI7point2dEEZNS1_11reduce_implILb1ES3_N6thrust23THRUST_200600_302600_NS6detail15normal_iteratorINS9_10device_ptrIS5_EEEEP4bboxSF_14bbox_reductionEE10hipError_tPvRmT1_T2_T3_mT4_P12ihipStream_tbEUlT_E0_NS1_11comp_targetILNS1_3genE5ELNS1_11target_archE942ELNS1_3gpuE9ELNS1_3repE0EEENS1_30default_config_static_selectorELNS0_4arch9wavefront6targetE1EEEvSL_
                                        ; -- End function
	.set _ZN7rocprim17ROCPRIM_400000_NS6detail17trampoline_kernelINS0_14default_configENS1_22reduce_config_selectorI7point2dEEZNS1_11reduce_implILb1ES3_N6thrust23THRUST_200600_302600_NS6detail15normal_iteratorINS9_10device_ptrIS5_EEEEP4bboxSF_14bbox_reductionEE10hipError_tPvRmT1_T2_T3_mT4_P12ihipStream_tbEUlT_E0_NS1_11comp_targetILNS1_3genE5ELNS1_11target_archE942ELNS1_3gpuE9ELNS1_3repE0EEENS1_30default_config_static_selectorELNS0_4arch9wavefront6targetE1EEEvSL_.num_vgpr, 0
	.set _ZN7rocprim17ROCPRIM_400000_NS6detail17trampoline_kernelINS0_14default_configENS1_22reduce_config_selectorI7point2dEEZNS1_11reduce_implILb1ES3_N6thrust23THRUST_200600_302600_NS6detail15normal_iteratorINS9_10device_ptrIS5_EEEEP4bboxSF_14bbox_reductionEE10hipError_tPvRmT1_T2_T3_mT4_P12ihipStream_tbEUlT_E0_NS1_11comp_targetILNS1_3genE5ELNS1_11target_archE942ELNS1_3gpuE9ELNS1_3repE0EEENS1_30default_config_static_selectorELNS0_4arch9wavefront6targetE1EEEvSL_.num_agpr, 0
	.set _ZN7rocprim17ROCPRIM_400000_NS6detail17trampoline_kernelINS0_14default_configENS1_22reduce_config_selectorI7point2dEEZNS1_11reduce_implILb1ES3_N6thrust23THRUST_200600_302600_NS6detail15normal_iteratorINS9_10device_ptrIS5_EEEEP4bboxSF_14bbox_reductionEE10hipError_tPvRmT1_T2_T3_mT4_P12ihipStream_tbEUlT_E0_NS1_11comp_targetILNS1_3genE5ELNS1_11target_archE942ELNS1_3gpuE9ELNS1_3repE0EEENS1_30default_config_static_selectorELNS0_4arch9wavefront6targetE1EEEvSL_.numbered_sgpr, 0
	.set _ZN7rocprim17ROCPRIM_400000_NS6detail17trampoline_kernelINS0_14default_configENS1_22reduce_config_selectorI7point2dEEZNS1_11reduce_implILb1ES3_N6thrust23THRUST_200600_302600_NS6detail15normal_iteratorINS9_10device_ptrIS5_EEEEP4bboxSF_14bbox_reductionEE10hipError_tPvRmT1_T2_T3_mT4_P12ihipStream_tbEUlT_E0_NS1_11comp_targetILNS1_3genE5ELNS1_11target_archE942ELNS1_3gpuE9ELNS1_3repE0EEENS1_30default_config_static_selectorELNS0_4arch9wavefront6targetE1EEEvSL_.num_named_barrier, 0
	.set _ZN7rocprim17ROCPRIM_400000_NS6detail17trampoline_kernelINS0_14default_configENS1_22reduce_config_selectorI7point2dEEZNS1_11reduce_implILb1ES3_N6thrust23THRUST_200600_302600_NS6detail15normal_iteratorINS9_10device_ptrIS5_EEEEP4bboxSF_14bbox_reductionEE10hipError_tPvRmT1_T2_T3_mT4_P12ihipStream_tbEUlT_E0_NS1_11comp_targetILNS1_3genE5ELNS1_11target_archE942ELNS1_3gpuE9ELNS1_3repE0EEENS1_30default_config_static_selectorELNS0_4arch9wavefront6targetE1EEEvSL_.private_seg_size, 0
	.set _ZN7rocprim17ROCPRIM_400000_NS6detail17trampoline_kernelINS0_14default_configENS1_22reduce_config_selectorI7point2dEEZNS1_11reduce_implILb1ES3_N6thrust23THRUST_200600_302600_NS6detail15normal_iteratorINS9_10device_ptrIS5_EEEEP4bboxSF_14bbox_reductionEE10hipError_tPvRmT1_T2_T3_mT4_P12ihipStream_tbEUlT_E0_NS1_11comp_targetILNS1_3genE5ELNS1_11target_archE942ELNS1_3gpuE9ELNS1_3repE0EEENS1_30default_config_static_selectorELNS0_4arch9wavefront6targetE1EEEvSL_.uses_vcc, 0
	.set _ZN7rocprim17ROCPRIM_400000_NS6detail17trampoline_kernelINS0_14default_configENS1_22reduce_config_selectorI7point2dEEZNS1_11reduce_implILb1ES3_N6thrust23THRUST_200600_302600_NS6detail15normal_iteratorINS9_10device_ptrIS5_EEEEP4bboxSF_14bbox_reductionEE10hipError_tPvRmT1_T2_T3_mT4_P12ihipStream_tbEUlT_E0_NS1_11comp_targetILNS1_3genE5ELNS1_11target_archE942ELNS1_3gpuE9ELNS1_3repE0EEENS1_30default_config_static_selectorELNS0_4arch9wavefront6targetE1EEEvSL_.uses_flat_scratch, 0
	.set _ZN7rocprim17ROCPRIM_400000_NS6detail17trampoline_kernelINS0_14default_configENS1_22reduce_config_selectorI7point2dEEZNS1_11reduce_implILb1ES3_N6thrust23THRUST_200600_302600_NS6detail15normal_iteratorINS9_10device_ptrIS5_EEEEP4bboxSF_14bbox_reductionEE10hipError_tPvRmT1_T2_T3_mT4_P12ihipStream_tbEUlT_E0_NS1_11comp_targetILNS1_3genE5ELNS1_11target_archE942ELNS1_3gpuE9ELNS1_3repE0EEENS1_30default_config_static_selectorELNS0_4arch9wavefront6targetE1EEEvSL_.has_dyn_sized_stack, 0
	.set _ZN7rocprim17ROCPRIM_400000_NS6detail17trampoline_kernelINS0_14default_configENS1_22reduce_config_selectorI7point2dEEZNS1_11reduce_implILb1ES3_N6thrust23THRUST_200600_302600_NS6detail15normal_iteratorINS9_10device_ptrIS5_EEEEP4bboxSF_14bbox_reductionEE10hipError_tPvRmT1_T2_T3_mT4_P12ihipStream_tbEUlT_E0_NS1_11comp_targetILNS1_3genE5ELNS1_11target_archE942ELNS1_3gpuE9ELNS1_3repE0EEENS1_30default_config_static_selectorELNS0_4arch9wavefront6targetE1EEEvSL_.has_recursion, 0
	.set _ZN7rocprim17ROCPRIM_400000_NS6detail17trampoline_kernelINS0_14default_configENS1_22reduce_config_selectorI7point2dEEZNS1_11reduce_implILb1ES3_N6thrust23THRUST_200600_302600_NS6detail15normal_iteratorINS9_10device_ptrIS5_EEEEP4bboxSF_14bbox_reductionEE10hipError_tPvRmT1_T2_T3_mT4_P12ihipStream_tbEUlT_E0_NS1_11comp_targetILNS1_3genE5ELNS1_11target_archE942ELNS1_3gpuE9ELNS1_3repE0EEENS1_30default_config_static_selectorELNS0_4arch9wavefront6targetE1EEEvSL_.has_indirect_call, 0
	.section	.AMDGPU.csdata,"",@progbits
; Kernel info:
; codeLenInByte = 0
; TotalNumSgprs: 4
; NumVgprs: 0
; ScratchSize: 0
; MemoryBound: 0
; FloatMode: 240
; IeeeMode: 1
; LDSByteSize: 0 bytes/workgroup (compile time only)
; SGPRBlocks: 0
; VGPRBlocks: 0
; NumSGPRsForWavesPerEU: 4
; NumVGPRsForWavesPerEU: 1
; Occupancy: 10
; WaveLimiterHint : 0
; COMPUTE_PGM_RSRC2:SCRATCH_EN: 0
; COMPUTE_PGM_RSRC2:USER_SGPR: 6
; COMPUTE_PGM_RSRC2:TRAP_HANDLER: 0
; COMPUTE_PGM_RSRC2:TGID_X_EN: 1
; COMPUTE_PGM_RSRC2:TGID_Y_EN: 0
; COMPUTE_PGM_RSRC2:TGID_Z_EN: 0
; COMPUTE_PGM_RSRC2:TIDIG_COMP_CNT: 0
	.section	.text._ZN7rocprim17ROCPRIM_400000_NS6detail17trampoline_kernelINS0_14default_configENS1_22reduce_config_selectorI7point2dEEZNS1_11reduce_implILb1ES3_N6thrust23THRUST_200600_302600_NS6detail15normal_iteratorINS9_10device_ptrIS5_EEEEP4bboxSF_14bbox_reductionEE10hipError_tPvRmT1_T2_T3_mT4_P12ihipStream_tbEUlT_E0_NS1_11comp_targetILNS1_3genE4ELNS1_11target_archE910ELNS1_3gpuE8ELNS1_3repE0EEENS1_30default_config_static_selectorELNS0_4arch9wavefront6targetE1EEEvSL_,"axG",@progbits,_ZN7rocprim17ROCPRIM_400000_NS6detail17trampoline_kernelINS0_14default_configENS1_22reduce_config_selectorI7point2dEEZNS1_11reduce_implILb1ES3_N6thrust23THRUST_200600_302600_NS6detail15normal_iteratorINS9_10device_ptrIS5_EEEEP4bboxSF_14bbox_reductionEE10hipError_tPvRmT1_T2_T3_mT4_P12ihipStream_tbEUlT_E0_NS1_11comp_targetILNS1_3genE4ELNS1_11target_archE910ELNS1_3gpuE8ELNS1_3repE0EEENS1_30default_config_static_selectorELNS0_4arch9wavefront6targetE1EEEvSL_,comdat
	.protected	_ZN7rocprim17ROCPRIM_400000_NS6detail17trampoline_kernelINS0_14default_configENS1_22reduce_config_selectorI7point2dEEZNS1_11reduce_implILb1ES3_N6thrust23THRUST_200600_302600_NS6detail15normal_iteratorINS9_10device_ptrIS5_EEEEP4bboxSF_14bbox_reductionEE10hipError_tPvRmT1_T2_T3_mT4_P12ihipStream_tbEUlT_E0_NS1_11comp_targetILNS1_3genE4ELNS1_11target_archE910ELNS1_3gpuE8ELNS1_3repE0EEENS1_30default_config_static_selectorELNS0_4arch9wavefront6targetE1EEEvSL_ ; -- Begin function _ZN7rocprim17ROCPRIM_400000_NS6detail17trampoline_kernelINS0_14default_configENS1_22reduce_config_selectorI7point2dEEZNS1_11reduce_implILb1ES3_N6thrust23THRUST_200600_302600_NS6detail15normal_iteratorINS9_10device_ptrIS5_EEEEP4bboxSF_14bbox_reductionEE10hipError_tPvRmT1_T2_T3_mT4_P12ihipStream_tbEUlT_E0_NS1_11comp_targetILNS1_3genE4ELNS1_11target_archE910ELNS1_3gpuE8ELNS1_3repE0EEENS1_30default_config_static_selectorELNS0_4arch9wavefront6targetE1EEEvSL_
	.globl	_ZN7rocprim17ROCPRIM_400000_NS6detail17trampoline_kernelINS0_14default_configENS1_22reduce_config_selectorI7point2dEEZNS1_11reduce_implILb1ES3_N6thrust23THRUST_200600_302600_NS6detail15normal_iteratorINS9_10device_ptrIS5_EEEEP4bboxSF_14bbox_reductionEE10hipError_tPvRmT1_T2_T3_mT4_P12ihipStream_tbEUlT_E0_NS1_11comp_targetILNS1_3genE4ELNS1_11target_archE910ELNS1_3gpuE8ELNS1_3repE0EEENS1_30default_config_static_selectorELNS0_4arch9wavefront6targetE1EEEvSL_
	.p2align	8
	.type	_ZN7rocprim17ROCPRIM_400000_NS6detail17trampoline_kernelINS0_14default_configENS1_22reduce_config_selectorI7point2dEEZNS1_11reduce_implILb1ES3_N6thrust23THRUST_200600_302600_NS6detail15normal_iteratorINS9_10device_ptrIS5_EEEEP4bboxSF_14bbox_reductionEE10hipError_tPvRmT1_T2_T3_mT4_P12ihipStream_tbEUlT_E0_NS1_11comp_targetILNS1_3genE4ELNS1_11target_archE910ELNS1_3gpuE8ELNS1_3repE0EEENS1_30default_config_static_selectorELNS0_4arch9wavefront6targetE1EEEvSL_,@function
_ZN7rocprim17ROCPRIM_400000_NS6detail17trampoline_kernelINS0_14default_configENS1_22reduce_config_selectorI7point2dEEZNS1_11reduce_implILb1ES3_N6thrust23THRUST_200600_302600_NS6detail15normal_iteratorINS9_10device_ptrIS5_EEEEP4bboxSF_14bbox_reductionEE10hipError_tPvRmT1_T2_T3_mT4_P12ihipStream_tbEUlT_E0_NS1_11comp_targetILNS1_3genE4ELNS1_11target_archE910ELNS1_3gpuE8ELNS1_3repE0EEENS1_30default_config_static_selectorELNS0_4arch9wavefront6targetE1EEEvSL_: ; @_ZN7rocprim17ROCPRIM_400000_NS6detail17trampoline_kernelINS0_14default_configENS1_22reduce_config_selectorI7point2dEEZNS1_11reduce_implILb1ES3_N6thrust23THRUST_200600_302600_NS6detail15normal_iteratorINS9_10device_ptrIS5_EEEEP4bboxSF_14bbox_reductionEE10hipError_tPvRmT1_T2_T3_mT4_P12ihipStream_tbEUlT_E0_NS1_11comp_targetILNS1_3genE4ELNS1_11target_archE910ELNS1_3gpuE8ELNS1_3repE0EEENS1_30default_config_static_selectorELNS0_4arch9wavefront6targetE1EEEvSL_
; %bb.0:
	.section	.rodata,"a",@progbits
	.p2align	6, 0x0
	.amdhsa_kernel _ZN7rocprim17ROCPRIM_400000_NS6detail17trampoline_kernelINS0_14default_configENS1_22reduce_config_selectorI7point2dEEZNS1_11reduce_implILb1ES3_N6thrust23THRUST_200600_302600_NS6detail15normal_iteratorINS9_10device_ptrIS5_EEEEP4bboxSF_14bbox_reductionEE10hipError_tPvRmT1_T2_T3_mT4_P12ihipStream_tbEUlT_E0_NS1_11comp_targetILNS1_3genE4ELNS1_11target_archE910ELNS1_3gpuE8ELNS1_3repE0EEENS1_30default_config_static_selectorELNS0_4arch9wavefront6targetE1EEEvSL_
		.amdhsa_group_segment_fixed_size 0
		.amdhsa_private_segment_fixed_size 0
		.amdhsa_kernarg_size 72
		.amdhsa_user_sgpr_count 6
		.amdhsa_user_sgpr_private_segment_buffer 1
		.amdhsa_user_sgpr_dispatch_ptr 0
		.amdhsa_user_sgpr_queue_ptr 0
		.amdhsa_user_sgpr_kernarg_segment_ptr 1
		.amdhsa_user_sgpr_dispatch_id 0
		.amdhsa_user_sgpr_flat_scratch_init 0
		.amdhsa_user_sgpr_private_segment_size 0
		.amdhsa_uses_dynamic_stack 0
		.amdhsa_system_sgpr_private_segment_wavefront_offset 0
		.amdhsa_system_sgpr_workgroup_id_x 1
		.amdhsa_system_sgpr_workgroup_id_y 0
		.amdhsa_system_sgpr_workgroup_id_z 0
		.amdhsa_system_sgpr_workgroup_info 0
		.amdhsa_system_vgpr_workitem_id 0
		.amdhsa_next_free_vgpr 1
		.amdhsa_next_free_sgpr 0
		.amdhsa_reserve_vcc 0
		.amdhsa_reserve_flat_scratch 0
		.amdhsa_float_round_mode_32 0
		.amdhsa_float_round_mode_16_64 0
		.amdhsa_float_denorm_mode_32 3
		.amdhsa_float_denorm_mode_16_64 3
		.amdhsa_dx10_clamp 1
		.amdhsa_ieee_mode 1
		.amdhsa_fp16_overflow 0
		.amdhsa_exception_fp_ieee_invalid_op 0
		.amdhsa_exception_fp_denorm_src 0
		.amdhsa_exception_fp_ieee_div_zero 0
		.amdhsa_exception_fp_ieee_overflow 0
		.amdhsa_exception_fp_ieee_underflow 0
		.amdhsa_exception_fp_ieee_inexact 0
		.amdhsa_exception_int_div_zero 0
	.end_amdhsa_kernel
	.section	.text._ZN7rocprim17ROCPRIM_400000_NS6detail17trampoline_kernelINS0_14default_configENS1_22reduce_config_selectorI7point2dEEZNS1_11reduce_implILb1ES3_N6thrust23THRUST_200600_302600_NS6detail15normal_iteratorINS9_10device_ptrIS5_EEEEP4bboxSF_14bbox_reductionEE10hipError_tPvRmT1_T2_T3_mT4_P12ihipStream_tbEUlT_E0_NS1_11comp_targetILNS1_3genE4ELNS1_11target_archE910ELNS1_3gpuE8ELNS1_3repE0EEENS1_30default_config_static_selectorELNS0_4arch9wavefront6targetE1EEEvSL_,"axG",@progbits,_ZN7rocprim17ROCPRIM_400000_NS6detail17trampoline_kernelINS0_14default_configENS1_22reduce_config_selectorI7point2dEEZNS1_11reduce_implILb1ES3_N6thrust23THRUST_200600_302600_NS6detail15normal_iteratorINS9_10device_ptrIS5_EEEEP4bboxSF_14bbox_reductionEE10hipError_tPvRmT1_T2_T3_mT4_P12ihipStream_tbEUlT_E0_NS1_11comp_targetILNS1_3genE4ELNS1_11target_archE910ELNS1_3gpuE8ELNS1_3repE0EEENS1_30default_config_static_selectorELNS0_4arch9wavefront6targetE1EEEvSL_,comdat
.Lfunc_end22:
	.size	_ZN7rocprim17ROCPRIM_400000_NS6detail17trampoline_kernelINS0_14default_configENS1_22reduce_config_selectorI7point2dEEZNS1_11reduce_implILb1ES3_N6thrust23THRUST_200600_302600_NS6detail15normal_iteratorINS9_10device_ptrIS5_EEEEP4bboxSF_14bbox_reductionEE10hipError_tPvRmT1_T2_T3_mT4_P12ihipStream_tbEUlT_E0_NS1_11comp_targetILNS1_3genE4ELNS1_11target_archE910ELNS1_3gpuE8ELNS1_3repE0EEENS1_30default_config_static_selectorELNS0_4arch9wavefront6targetE1EEEvSL_, .Lfunc_end22-_ZN7rocprim17ROCPRIM_400000_NS6detail17trampoline_kernelINS0_14default_configENS1_22reduce_config_selectorI7point2dEEZNS1_11reduce_implILb1ES3_N6thrust23THRUST_200600_302600_NS6detail15normal_iteratorINS9_10device_ptrIS5_EEEEP4bboxSF_14bbox_reductionEE10hipError_tPvRmT1_T2_T3_mT4_P12ihipStream_tbEUlT_E0_NS1_11comp_targetILNS1_3genE4ELNS1_11target_archE910ELNS1_3gpuE8ELNS1_3repE0EEENS1_30default_config_static_selectorELNS0_4arch9wavefront6targetE1EEEvSL_
                                        ; -- End function
	.set _ZN7rocprim17ROCPRIM_400000_NS6detail17trampoline_kernelINS0_14default_configENS1_22reduce_config_selectorI7point2dEEZNS1_11reduce_implILb1ES3_N6thrust23THRUST_200600_302600_NS6detail15normal_iteratorINS9_10device_ptrIS5_EEEEP4bboxSF_14bbox_reductionEE10hipError_tPvRmT1_T2_T3_mT4_P12ihipStream_tbEUlT_E0_NS1_11comp_targetILNS1_3genE4ELNS1_11target_archE910ELNS1_3gpuE8ELNS1_3repE0EEENS1_30default_config_static_selectorELNS0_4arch9wavefront6targetE1EEEvSL_.num_vgpr, 0
	.set _ZN7rocprim17ROCPRIM_400000_NS6detail17trampoline_kernelINS0_14default_configENS1_22reduce_config_selectorI7point2dEEZNS1_11reduce_implILb1ES3_N6thrust23THRUST_200600_302600_NS6detail15normal_iteratorINS9_10device_ptrIS5_EEEEP4bboxSF_14bbox_reductionEE10hipError_tPvRmT1_T2_T3_mT4_P12ihipStream_tbEUlT_E0_NS1_11comp_targetILNS1_3genE4ELNS1_11target_archE910ELNS1_3gpuE8ELNS1_3repE0EEENS1_30default_config_static_selectorELNS0_4arch9wavefront6targetE1EEEvSL_.num_agpr, 0
	.set _ZN7rocprim17ROCPRIM_400000_NS6detail17trampoline_kernelINS0_14default_configENS1_22reduce_config_selectorI7point2dEEZNS1_11reduce_implILb1ES3_N6thrust23THRUST_200600_302600_NS6detail15normal_iteratorINS9_10device_ptrIS5_EEEEP4bboxSF_14bbox_reductionEE10hipError_tPvRmT1_T2_T3_mT4_P12ihipStream_tbEUlT_E0_NS1_11comp_targetILNS1_3genE4ELNS1_11target_archE910ELNS1_3gpuE8ELNS1_3repE0EEENS1_30default_config_static_selectorELNS0_4arch9wavefront6targetE1EEEvSL_.numbered_sgpr, 0
	.set _ZN7rocprim17ROCPRIM_400000_NS6detail17trampoline_kernelINS0_14default_configENS1_22reduce_config_selectorI7point2dEEZNS1_11reduce_implILb1ES3_N6thrust23THRUST_200600_302600_NS6detail15normal_iteratorINS9_10device_ptrIS5_EEEEP4bboxSF_14bbox_reductionEE10hipError_tPvRmT1_T2_T3_mT4_P12ihipStream_tbEUlT_E0_NS1_11comp_targetILNS1_3genE4ELNS1_11target_archE910ELNS1_3gpuE8ELNS1_3repE0EEENS1_30default_config_static_selectorELNS0_4arch9wavefront6targetE1EEEvSL_.num_named_barrier, 0
	.set _ZN7rocprim17ROCPRIM_400000_NS6detail17trampoline_kernelINS0_14default_configENS1_22reduce_config_selectorI7point2dEEZNS1_11reduce_implILb1ES3_N6thrust23THRUST_200600_302600_NS6detail15normal_iteratorINS9_10device_ptrIS5_EEEEP4bboxSF_14bbox_reductionEE10hipError_tPvRmT1_T2_T3_mT4_P12ihipStream_tbEUlT_E0_NS1_11comp_targetILNS1_3genE4ELNS1_11target_archE910ELNS1_3gpuE8ELNS1_3repE0EEENS1_30default_config_static_selectorELNS0_4arch9wavefront6targetE1EEEvSL_.private_seg_size, 0
	.set _ZN7rocprim17ROCPRIM_400000_NS6detail17trampoline_kernelINS0_14default_configENS1_22reduce_config_selectorI7point2dEEZNS1_11reduce_implILb1ES3_N6thrust23THRUST_200600_302600_NS6detail15normal_iteratorINS9_10device_ptrIS5_EEEEP4bboxSF_14bbox_reductionEE10hipError_tPvRmT1_T2_T3_mT4_P12ihipStream_tbEUlT_E0_NS1_11comp_targetILNS1_3genE4ELNS1_11target_archE910ELNS1_3gpuE8ELNS1_3repE0EEENS1_30default_config_static_selectorELNS0_4arch9wavefront6targetE1EEEvSL_.uses_vcc, 0
	.set _ZN7rocprim17ROCPRIM_400000_NS6detail17trampoline_kernelINS0_14default_configENS1_22reduce_config_selectorI7point2dEEZNS1_11reduce_implILb1ES3_N6thrust23THRUST_200600_302600_NS6detail15normal_iteratorINS9_10device_ptrIS5_EEEEP4bboxSF_14bbox_reductionEE10hipError_tPvRmT1_T2_T3_mT4_P12ihipStream_tbEUlT_E0_NS1_11comp_targetILNS1_3genE4ELNS1_11target_archE910ELNS1_3gpuE8ELNS1_3repE0EEENS1_30default_config_static_selectorELNS0_4arch9wavefront6targetE1EEEvSL_.uses_flat_scratch, 0
	.set _ZN7rocprim17ROCPRIM_400000_NS6detail17trampoline_kernelINS0_14default_configENS1_22reduce_config_selectorI7point2dEEZNS1_11reduce_implILb1ES3_N6thrust23THRUST_200600_302600_NS6detail15normal_iteratorINS9_10device_ptrIS5_EEEEP4bboxSF_14bbox_reductionEE10hipError_tPvRmT1_T2_T3_mT4_P12ihipStream_tbEUlT_E0_NS1_11comp_targetILNS1_3genE4ELNS1_11target_archE910ELNS1_3gpuE8ELNS1_3repE0EEENS1_30default_config_static_selectorELNS0_4arch9wavefront6targetE1EEEvSL_.has_dyn_sized_stack, 0
	.set _ZN7rocprim17ROCPRIM_400000_NS6detail17trampoline_kernelINS0_14default_configENS1_22reduce_config_selectorI7point2dEEZNS1_11reduce_implILb1ES3_N6thrust23THRUST_200600_302600_NS6detail15normal_iteratorINS9_10device_ptrIS5_EEEEP4bboxSF_14bbox_reductionEE10hipError_tPvRmT1_T2_T3_mT4_P12ihipStream_tbEUlT_E0_NS1_11comp_targetILNS1_3genE4ELNS1_11target_archE910ELNS1_3gpuE8ELNS1_3repE0EEENS1_30default_config_static_selectorELNS0_4arch9wavefront6targetE1EEEvSL_.has_recursion, 0
	.set _ZN7rocprim17ROCPRIM_400000_NS6detail17trampoline_kernelINS0_14default_configENS1_22reduce_config_selectorI7point2dEEZNS1_11reduce_implILb1ES3_N6thrust23THRUST_200600_302600_NS6detail15normal_iteratorINS9_10device_ptrIS5_EEEEP4bboxSF_14bbox_reductionEE10hipError_tPvRmT1_T2_T3_mT4_P12ihipStream_tbEUlT_E0_NS1_11comp_targetILNS1_3genE4ELNS1_11target_archE910ELNS1_3gpuE8ELNS1_3repE0EEENS1_30default_config_static_selectorELNS0_4arch9wavefront6targetE1EEEvSL_.has_indirect_call, 0
	.section	.AMDGPU.csdata,"",@progbits
; Kernel info:
; codeLenInByte = 0
; TotalNumSgprs: 4
; NumVgprs: 0
; ScratchSize: 0
; MemoryBound: 0
; FloatMode: 240
; IeeeMode: 1
; LDSByteSize: 0 bytes/workgroup (compile time only)
; SGPRBlocks: 0
; VGPRBlocks: 0
; NumSGPRsForWavesPerEU: 4
; NumVGPRsForWavesPerEU: 1
; Occupancy: 10
; WaveLimiterHint : 0
; COMPUTE_PGM_RSRC2:SCRATCH_EN: 0
; COMPUTE_PGM_RSRC2:USER_SGPR: 6
; COMPUTE_PGM_RSRC2:TRAP_HANDLER: 0
; COMPUTE_PGM_RSRC2:TGID_X_EN: 1
; COMPUTE_PGM_RSRC2:TGID_Y_EN: 0
; COMPUTE_PGM_RSRC2:TGID_Z_EN: 0
; COMPUTE_PGM_RSRC2:TIDIG_COMP_CNT: 0
	.section	.text._ZN7rocprim17ROCPRIM_400000_NS6detail17trampoline_kernelINS0_14default_configENS1_22reduce_config_selectorI7point2dEEZNS1_11reduce_implILb1ES3_N6thrust23THRUST_200600_302600_NS6detail15normal_iteratorINS9_10device_ptrIS5_EEEEP4bboxSF_14bbox_reductionEE10hipError_tPvRmT1_T2_T3_mT4_P12ihipStream_tbEUlT_E0_NS1_11comp_targetILNS1_3genE3ELNS1_11target_archE908ELNS1_3gpuE7ELNS1_3repE0EEENS1_30default_config_static_selectorELNS0_4arch9wavefront6targetE1EEEvSL_,"axG",@progbits,_ZN7rocprim17ROCPRIM_400000_NS6detail17trampoline_kernelINS0_14default_configENS1_22reduce_config_selectorI7point2dEEZNS1_11reduce_implILb1ES3_N6thrust23THRUST_200600_302600_NS6detail15normal_iteratorINS9_10device_ptrIS5_EEEEP4bboxSF_14bbox_reductionEE10hipError_tPvRmT1_T2_T3_mT4_P12ihipStream_tbEUlT_E0_NS1_11comp_targetILNS1_3genE3ELNS1_11target_archE908ELNS1_3gpuE7ELNS1_3repE0EEENS1_30default_config_static_selectorELNS0_4arch9wavefront6targetE1EEEvSL_,comdat
	.protected	_ZN7rocprim17ROCPRIM_400000_NS6detail17trampoline_kernelINS0_14default_configENS1_22reduce_config_selectorI7point2dEEZNS1_11reduce_implILb1ES3_N6thrust23THRUST_200600_302600_NS6detail15normal_iteratorINS9_10device_ptrIS5_EEEEP4bboxSF_14bbox_reductionEE10hipError_tPvRmT1_T2_T3_mT4_P12ihipStream_tbEUlT_E0_NS1_11comp_targetILNS1_3genE3ELNS1_11target_archE908ELNS1_3gpuE7ELNS1_3repE0EEENS1_30default_config_static_selectorELNS0_4arch9wavefront6targetE1EEEvSL_ ; -- Begin function _ZN7rocprim17ROCPRIM_400000_NS6detail17trampoline_kernelINS0_14default_configENS1_22reduce_config_selectorI7point2dEEZNS1_11reduce_implILb1ES3_N6thrust23THRUST_200600_302600_NS6detail15normal_iteratorINS9_10device_ptrIS5_EEEEP4bboxSF_14bbox_reductionEE10hipError_tPvRmT1_T2_T3_mT4_P12ihipStream_tbEUlT_E0_NS1_11comp_targetILNS1_3genE3ELNS1_11target_archE908ELNS1_3gpuE7ELNS1_3repE0EEENS1_30default_config_static_selectorELNS0_4arch9wavefront6targetE1EEEvSL_
	.globl	_ZN7rocprim17ROCPRIM_400000_NS6detail17trampoline_kernelINS0_14default_configENS1_22reduce_config_selectorI7point2dEEZNS1_11reduce_implILb1ES3_N6thrust23THRUST_200600_302600_NS6detail15normal_iteratorINS9_10device_ptrIS5_EEEEP4bboxSF_14bbox_reductionEE10hipError_tPvRmT1_T2_T3_mT4_P12ihipStream_tbEUlT_E0_NS1_11comp_targetILNS1_3genE3ELNS1_11target_archE908ELNS1_3gpuE7ELNS1_3repE0EEENS1_30default_config_static_selectorELNS0_4arch9wavefront6targetE1EEEvSL_
	.p2align	8
	.type	_ZN7rocprim17ROCPRIM_400000_NS6detail17trampoline_kernelINS0_14default_configENS1_22reduce_config_selectorI7point2dEEZNS1_11reduce_implILb1ES3_N6thrust23THRUST_200600_302600_NS6detail15normal_iteratorINS9_10device_ptrIS5_EEEEP4bboxSF_14bbox_reductionEE10hipError_tPvRmT1_T2_T3_mT4_P12ihipStream_tbEUlT_E0_NS1_11comp_targetILNS1_3genE3ELNS1_11target_archE908ELNS1_3gpuE7ELNS1_3repE0EEENS1_30default_config_static_selectorELNS0_4arch9wavefront6targetE1EEEvSL_,@function
_ZN7rocprim17ROCPRIM_400000_NS6detail17trampoline_kernelINS0_14default_configENS1_22reduce_config_selectorI7point2dEEZNS1_11reduce_implILb1ES3_N6thrust23THRUST_200600_302600_NS6detail15normal_iteratorINS9_10device_ptrIS5_EEEEP4bboxSF_14bbox_reductionEE10hipError_tPvRmT1_T2_T3_mT4_P12ihipStream_tbEUlT_E0_NS1_11comp_targetILNS1_3genE3ELNS1_11target_archE908ELNS1_3gpuE7ELNS1_3repE0EEENS1_30default_config_static_selectorELNS0_4arch9wavefront6targetE1EEEvSL_: ; @_ZN7rocprim17ROCPRIM_400000_NS6detail17trampoline_kernelINS0_14default_configENS1_22reduce_config_selectorI7point2dEEZNS1_11reduce_implILb1ES3_N6thrust23THRUST_200600_302600_NS6detail15normal_iteratorINS9_10device_ptrIS5_EEEEP4bboxSF_14bbox_reductionEE10hipError_tPvRmT1_T2_T3_mT4_P12ihipStream_tbEUlT_E0_NS1_11comp_targetILNS1_3genE3ELNS1_11target_archE908ELNS1_3gpuE7ELNS1_3repE0EEENS1_30default_config_static_selectorELNS0_4arch9wavefront6targetE1EEEvSL_
; %bb.0:
	.section	.rodata,"a",@progbits
	.p2align	6, 0x0
	.amdhsa_kernel _ZN7rocprim17ROCPRIM_400000_NS6detail17trampoline_kernelINS0_14default_configENS1_22reduce_config_selectorI7point2dEEZNS1_11reduce_implILb1ES3_N6thrust23THRUST_200600_302600_NS6detail15normal_iteratorINS9_10device_ptrIS5_EEEEP4bboxSF_14bbox_reductionEE10hipError_tPvRmT1_T2_T3_mT4_P12ihipStream_tbEUlT_E0_NS1_11comp_targetILNS1_3genE3ELNS1_11target_archE908ELNS1_3gpuE7ELNS1_3repE0EEENS1_30default_config_static_selectorELNS0_4arch9wavefront6targetE1EEEvSL_
		.amdhsa_group_segment_fixed_size 0
		.amdhsa_private_segment_fixed_size 0
		.amdhsa_kernarg_size 72
		.amdhsa_user_sgpr_count 6
		.amdhsa_user_sgpr_private_segment_buffer 1
		.amdhsa_user_sgpr_dispatch_ptr 0
		.amdhsa_user_sgpr_queue_ptr 0
		.amdhsa_user_sgpr_kernarg_segment_ptr 1
		.amdhsa_user_sgpr_dispatch_id 0
		.amdhsa_user_sgpr_flat_scratch_init 0
		.amdhsa_user_sgpr_private_segment_size 0
		.amdhsa_uses_dynamic_stack 0
		.amdhsa_system_sgpr_private_segment_wavefront_offset 0
		.amdhsa_system_sgpr_workgroup_id_x 1
		.amdhsa_system_sgpr_workgroup_id_y 0
		.amdhsa_system_sgpr_workgroup_id_z 0
		.amdhsa_system_sgpr_workgroup_info 0
		.amdhsa_system_vgpr_workitem_id 0
		.amdhsa_next_free_vgpr 1
		.amdhsa_next_free_sgpr 0
		.amdhsa_reserve_vcc 0
		.amdhsa_reserve_flat_scratch 0
		.amdhsa_float_round_mode_32 0
		.amdhsa_float_round_mode_16_64 0
		.amdhsa_float_denorm_mode_32 3
		.amdhsa_float_denorm_mode_16_64 3
		.amdhsa_dx10_clamp 1
		.amdhsa_ieee_mode 1
		.amdhsa_fp16_overflow 0
		.amdhsa_exception_fp_ieee_invalid_op 0
		.amdhsa_exception_fp_denorm_src 0
		.amdhsa_exception_fp_ieee_div_zero 0
		.amdhsa_exception_fp_ieee_overflow 0
		.amdhsa_exception_fp_ieee_underflow 0
		.amdhsa_exception_fp_ieee_inexact 0
		.amdhsa_exception_int_div_zero 0
	.end_amdhsa_kernel
	.section	.text._ZN7rocprim17ROCPRIM_400000_NS6detail17trampoline_kernelINS0_14default_configENS1_22reduce_config_selectorI7point2dEEZNS1_11reduce_implILb1ES3_N6thrust23THRUST_200600_302600_NS6detail15normal_iteratorINS9_10device_ptrIS5_EEEEP4bboxSF_14bbox_reductionEE10hipError_tPvRmT1_T2_T3_mT4_P12ihipStream_tbEUlT_E0_NS1_11comp_targetILNS1_3genE3ELNS1_11target_archE908ELNS1_3gpuE7ELNS1_3repE0EEENS1_30default_config_static_selectorELNS0_4arch9wavefront6targetE1EEEvSL_,"axG",@progbits,_ZN7rocprim17ROCPRIM_400000_NS6detail17trampoline_kernelINS0_14default_configENS1_22reduce_config_selectorI7point2dEEZNS1_11reduce_implILb1ES3_N6thrust23THRUST_200600_302600_NS6detail15normal_iteratorINS9_10device_ptrIS5_EEEEP4bboxSF_14bbox_reductionEE10hipError_tPvRmT1_T2_T3_mT4_P12ihipStream_tbEUlT_E0_NS1_11comp_targetILNS1_3genE3ELNS1_11target_archE908ELNS1_3gpuE7ELNS1_3repE0EEENS1_30default_config_static_selectorELNS0_4arch9wavefront6targetE1EEEvSL_,comdat
.Lfunc_end23:
	.size	_ZN7rocprim17ROCPRIM_400000_NS6detail17trampoline_kernelINS0_14default_configENS1_22reduce_config_selectorI7point2dEEZNS1_11reduce_implILb1ES3_N6thrust23THRUST_200600_302600_NS6detail15normal_iteratorINS9_10device_ptrIS5_EEEEP4bboxSF_14bbox_reductionEE10hipError_tPvRmT1_T2_T3_mT4_P12ihipStream_tbEUlT_E0_NS1_11comp_targetILNS1_3genE3ELNS1_11target_archE908ELNS1_3gpuE7ELNS1_3repE0EEENS1_30default_config_static_selectorELNS0_4arch9wavefront6targetE1EEEvSL_, .Lfunc_end23-_ZN7rocprim17ROCPRIM_400000_NS6detail17trampoline_kernelINS0_14default_configENS1_22reduce_config_selectorI7point2dEEZNS1_11reduce_implILb1ES3_N6thrust23THRUST_200600_302600_NS6detail15normal_iteratorINS9_10device_ptrIS5_EEEEP4bboxSF_14bbox_reductionEE10hipError_tPvRmT1_T2_T3_mT4_P12ihipStream_tbEUlT_E0_NS1_11comp_targetILNS1_3genE3ELNS1_11target_archE908ELNS1_3gpuE7ELNS1_3repE0EEENS1_30default_config_static_selectorELNS0_4arch9wavefront6targetE1EEEvSL_
                                        ; -- End function
	.set _ZN7rocprim17ROCPRIM_400000_NS6detail17trampoline_kernelINS0_14default_configENS1_22reduce_config_selectorI7point2dEEZNS1_11reduce_implILb1ES3_N6thrust23THRUST_200600_302600_NS6detail15normal_iteratorINS9_10device_ptrIS5_EEEEP4bboxSF_14bbox_reductionEE10hipError_tPvRmT1_T2_T3_mT4_P12ihipStream_tbEUlT_E0_NS1_11comp_targetILNS1_3genE3ELNS1_11target_archE908ELNS1_3gpuE7ELNS1_3repE0EEENS1_30default_config_static_selectorELNS0_4arch9wavefront6targetE1EEEvSL_.num_vgpr, 0
	.set _ZN7rocprim17ROCPRIM_400000_NS6detail17trampoline_kernelINS0_14default_configENS1_22reduce_config_selectorI7point2dEEZNS1_11reduce_implILb1ES3_N6thrust23THRUST_200600_302600_NS6detail15normal_iteratorINS9_10device_ptrIS5_EEEEP4bboxSF_14bbox_reductionEE10hipError_tPvRmT1_T2_T3_mT4_P12ihipStream_tbEUlT_E0_NS1_11comp_targetILNS1_3genE3ELNS1_11target_archE908ELNS1_3gpuE7ELNS1_3repE0EEENS1_30default_config_static_selectorELNS0_4arch9wavefront6targetE1EEEvSL_.num_agpr, 0
	.set _ZN7rocprim17ROCPRIM_400000_NS6detail17trampoline_kernelINS0_14default_configENS1_22reduce_config_selectorI7point2dEEZNS1_11reduce_implILb1ES3_N6thrust23THRUST_200600_302600_NS6detail15normal_iteratorINS9_10device_ptrIS5_EEEEP4bboxSF_14bbox_reductionEE10hipError_tPvRmT1_T2_T3_mT4_P12ihipStream_tbEUlT_E0_NS1_11comp_targetILNS1_3genE3ELNS1_11target_archE908ELNS1_3gpuE7ELNS1_3repE0EEENS1_30default_config_static_selectorELNS0_4arch9wavefront6targetE1EEEvSL_.numbered_sgpr, 0
	.set _ZN7rocprim17ROCPRIM_400000_NS6detail17trampoline_kernelINS0_14default_configENS1_22reduce_config_selectorI7point2dEEZNS1_11reduce_implILb1ES3_N6thrust23THRUST_200600_302600_NS6detail15normal_iteratorINS9_10device_ptrIS5_EEEEP4bboxSF_14bbox_reductionEE10hipError_tPvRmT1_T2_T3_mT4_P12ihipStream_tbEUlT_E0_NS1_11comp_targetILNS1_3genE3ELNS1_11target_archE908ELNS1_3gpuE7ELNS1_3repE0EEENS1_30default_config_static_selectorELNS0_4arch9wavefront6targetE1EEEvSL_.num_named_barrier, 0
	.set _ZN7rocprim17ROCPRIM_400000_NS6detail17trampoline_kernelINS0_14default_configENS1_22reduce_config_selectorI7point2dEEZNS1_11reduce_implILb1ES3_N6thrust23THRUST_200600_302600_NS6detail15normal_iteratorINS9_10device_ptrIS5_EEEEP4bboxSF_14bbox_reductionEE10hipError_tPvRmT1_T2_T3_mT4_P12ihipStream_tbEUlT_E0_NS1_11comp_targetILNS1_3genE3ELNS1_11target_archE908ELNS1_3gpuE7ELNS1_3repE0EEENS1_30default_config_static_selectorELNS0_4arch9wavefront6targetE1EEEvSL_.private_seg_size, 0
	.set _ZN7rocprim17ROCPRIM_400000_NS6detail17trampoline_kernelINS0_14default_configENS1_22reduce_config_selectorI7point2dEEZNS1_11reduce_implILb1ES3_N6thrust23THRUST_200600_302600_NS6detail15normal_iteratorINS9_10device_ptrIS5_EEEEP4bboxSF_14bbox_reductionEE10hipError_tPvRmT1_T2_T3_mT4_P12ihipStream_tbEUlT_E0_NS1_11comp_targetILNS1_3genE3ELNS1_11target_archE908ELNS1_3gpuE7ELNS1_3repE0EEENS1_30default_config_static_selectorELNS0_4arch9wavefront6targetE1EEEvSL_.uses_vcc, 0
	.set _ZN7rocprim17ROCPRIM_400000_NS6detail17trampoline_kernelINS0_14default_configENS1_22reduce_config_selectorI7point2dEEZNS1_11reduce_implILb1ES3_N6thrust23THRUST_200600_302600_NS6detail15normal_iteratorINS9_10device_ptrIS5_EEEEP4bboxSF_14bbox_reductionEE10hipError_tPvRmT1_T2_T3_mT4_P12ihipStream_tbEUlT_E0_NS1_11comp_targetILNS1_3genE3ELNS1_11target_archE908ELNS1_3gpuE7ELNS1_3repE0EEENS1_30default_config_static_selectorELNS0_4arch9wavefront6targetE1EEEvSL_.uses_flat_scratch, 0
	.set _ZN7rocprim17ROCPRIM_400000_NS6detail17trampoline_kernelINS0_14default_configENS1_22reduce_config_selectorI7point2dEEZNS1_11reduce_implILb1ES3_N6thrust23THRUST_200600_302600_NS6detail15normal_iteratorINS9_10device_ptrIS5_EEEEP4bboxSF_14bbox_reductionEE10hipError_tPvRmT1_T2_T3_mT4_P12ihipStream_tbEUlT_E0_NS1_11comp_targetILNS1_3genE3ELNS1_11target_archE908ELNS1_3gpuE7ELNS1_3repE0EEENS1_30default_config_static_selectorELNS0_4arch9wavefront6targetE1EEEvSL_.has_dyn_sized_stack, 0
	.set _ZN7rocprim17ROCPRIM_400000_NS6detail17trampoline_kernelINS0_14default_configENS1_22reduce_config_selectorI7point2dEEZNS1_11reduce_implILb1ES3_N6thrust23THRUST_200600_302600_NS6detail15normal_iteratorINS9_10device_ptrIS5_EEEEP4bboxSF_14bbox_reductionEE10hipError_tPvRmT1_T2_T3_mT4_P12ihipStream_tbEUlT_E0_NS1_11comp_targetILNS1_3genE3ELNS1_11target_archE908ELNS1_3gpuE7ELNS1_3repE0EEENS1_30default_config_static_selectorELNS0_4arch9wavefront6targetE1EEEvSL_.has_recursion, 0
	.set _ZN7rocprim17ROCPRIM_400000_NS6detail17trampoline_kernelINS0_14default_configENS1_22reduce_config_selectorI7point2dEEZNS1_11reduce_implILb1ES3_N6thrust23THRUST_200600_302600_NS6detail15normal_iteratorINS9_10device_ptrIS5_EEEEP4bboxSF_14bbox_reductionEE10hipError_tPvRmT1_T2_T3_mT4_P12ihipStream_tbEUlT_E0_NS1_11comp_targetILNS1_3genE3ELNS1_11target_archE908ELNS1_3gpuE7ELNS1_3repE0EEENS1_30default_config_static_selectorELNS0_4arch9wavefront6targetE1EEEvSL_.has_indirect_call, 0
	.section	.AMDGPU.csdata,"",@progbits
; Kernel info:
; codeLenInByte = 0
; TotalNumSgprs: 4
; NumVgprs: 0
; ScratchSize: 0
; MemoryBound: 0
; FloatMode: 240
; IeeeMode: 1
; LDSByteSize: 0 bytes/workgroup (compile time only)
; SGPRBlocks: 0
; VGPRBlocks: 0
; NumSGPRsForWavesPerEU: 4
; NumVGPRsForWavesPerEU: 1
; Occupancy: 10
; WaveLimiterHint : 0
; COMPUTE_PGM_RSRC2:SCRATCH_EN: 0
; COMPUTE_PGM_RSRC2:USER_SGPR: 6
; COMPUTE_PGM_RSRC2:TRAP_HANDLER: 0
; COMPUTE_PGM_RSRC2:TGID_X_EN: 1
; COMPUTE_PGM_RSRC2:TGID_Y_EN: 0
; COMPUTE_PGM_RSRC2:TGID_Z_EN: 0
; COMPUTE_PGM_RSRC2:TIDIG_COMP_CNT: 0
	.section	.text._ZN7rocprim17ROCPRIM_400000_NS6detail17trampoline_kernelINS0_14default_configENS1_22reduce_config_selectorI7point2dEEZNS1_11reduce_implILb1ES3_N6thrust23THRUST_200600_302600_NS6detail15normal_iteratorINS9_10device_ptrIS5_EEEEP4bboxSF_14bbox_reductionEE10hipError_tPvRmT1_T2_T3_mT4_P12ihipStream_tbEUlT_E0_NS1_11comp_targetILNS1_3genE2ELNS1_11target_archE906ELNS1_3gpuE6ELNS1_3repE0EEENS1_30default_config_static_selectorELNS0_4arch9wavefront6targetE1EEEvSL_,"axG",@progbits,_ZN7rocprim17ROCPRIM_400000_NS6detail17trampoline_kernelINS0_14default_configENS1_22reduce_config_selectorI7point2dEEZNS1_11reduce_implILb1ES3_N6thrust23THRUST_200600_302600_NS6detail15normal_iteratorINS9_10device_ptrIS5_EEEEP4bboxSF_14bbox_reductionEE10hipError_tPvRmT1_T2_T3_mT4_P12ihipStream_tbEUlT_E0_NS1_11comp_targetILNS1_3genE2ELNS1_11target_archE906ELNS1_3gpuE6ELNS1_3repE0EEENS1_30default_config_static_selectorELNS0_4arch9wavefront6targetE1EEEvSL_,comdat
	.protected	_ZN7rocprim17ROCPRIM_400000_NS6detail17trampoline_kernelINS0_14default_configENS1_22reduce_config_selectorI7point2dEEZNS1_11reduce_implILb1ES3_N6thrust23THRUST_200600_302600_NS6detail15normal_iteratorINS9_10device_ptrIS5_EEEEP4bboxSF_14bbox_reductionEE10hipError_tPvRmT1_T2_T3_mT4_P12ihipStream_tbEUlT_E0_NS1_11comp_targetILNS1_3genE2ELNS1_11target_archE906ELNS1_3gpuE6ELNS1_3repE0EEENS1_30default_config_static_selectorELNS0_4arch9wavefront6targetE1EEEvSL_ ; -- Begin function _ZN7rocprim17ROCPRIM_400000_NS6detail17trampoline_kernelINS0_14default_configENS1_22reduce_config_selectorI7point2dEEZNS1_11reduce_implILb1ES3_N6thrust23THRUST_200600_302600_NS6detail15normal_iteratorINS9_10device_ptrIS5_EEEEP4bboxSF_14bbox_reductionEE10hipError_tPvRmT1_T2_T3_mT4_P12ihipStream_tbEUlT_E0_NS1_11comp_targetILNS1_3genE2ELNS1_11target_archE906ELNS1_3gpuE6ELNS1_3repE0EEENS1_30default_config_static_selectorELNS0_4arch9wavefront6targetE1EEEvSL_
	.globl	_ZN7rocprim17ROCPRIM_400000_NS6detail17trampoline_kernelINS0_14default_configENS1_22reduce_config_selectorI7point2dEEZNS1_11reduce_implILb1ES3_N6thrust23THRUST_200600_302600_NS6detail15normal_iteratorINS9_10device_ptrIS5_EEEEP4bboxSF_14bbox_reductionEE10hipError_tPvRmT1_T2_T3_mT4_P12ihipStream_tbEUlT_E0_NS1_11comp_targetILNS1_3genE2ELNS1_11target_archE906ELNS1_3gpuE6ELNS1_3repE0EEENS1_30default_config_static_selectorELNS0_4arch9wavefront6targetE1EEEvSL_
	.p2align	8
	.type	_ZN7rocprim17ROCPRIM_400000_NS6detail17trampoline_kernelINS0_14default_configENS1_22reduce_config_selectorI7point2dEEZNS1_11reduce_implILb1ES3_N6thrust23THRUST_200600_302600_NS6detail15normal_iteratorINS9_10device_ptrIS5_EEEEP4bboxSF_14bbox_reductionEE10hipError_tPvRmT1_T2_T3_mT4_P12ihipStream_tbEUlT_E0_NS1_11comp_targetILNS1_3genE2ELNS1_11target_archE906ELNS1_3gpuE6ELNS1_3repE0EEENS1_30default_config_static_selectorELNS0_4arch9wavefront6targetE1EEEvSL_,@function
_ZN7rocprim17ROCPRIM_400000_NS6detail17trampoline_kernelINS0_14default_configENS1_22reduce_config_selectorI7point2dEEZNS1_11reduce_implILb1ES3_N6thrust23THRUST_200600_302600_NS6detail15normal_iteratorINS9_10device_ptrIS5_EEEEP4bboxSF_14bbox_reductionEE10hipError_tPvRmT1_T2_T3_mT4_P12ihipStream_tbEUlT_E0_NS1_11comp_targetILNS1_3genE2ELNS1_11target_archE906ELNS1_3gpuE6ELNS1_3repE0EEENS1_30default_config_static_selectorELNS0_4arch9wavefront6targetE1EEEvSL_: ; @_ZN7rocprim17ROCPRIM_400000_NS6detail17trampoline_kernelINS0_14default_configENS1_22reduce_config_selectorI7point2dEEZNS1_11reduce_implILb1ES3_N6thrust23THRUST_200600_302600_NS6detail15normal_iteratorINS9_10device_ptrIS5_EEEEP4bboxSF_14bbox_reductionEE10hipError_tPvRmT1_T2_T3_mT4_P12ihipStream_tbEUlT_E0_NS1_11comp_targetILNS1_3genE2ELNS1_11target_archE906ELNS1_3gpuE6ELNS1_3repE0EEENS1_30default_config_static_selectorELNS0_4arch9wavefront6targetE1EEEvSL_
; %bb.0:
	s_load_dwordx8 s[8:15], s[4:5], 0x0
	s_load_dwordx4 s[0:3], s[4:5], 0x20
	v_lshlrev_b32_e32 v6, 3, v0
	v_mbcnt_lo_u32_b32 v5, -1, 0
	s_waitcnt lgkmcnt(0)
	s_lshl_b64 s[10:11], s[10:11], 3
	s_add_u32 s18, s8, s10
	s_addc_u32 s19, s9, s11
	s_lshl_b32 s8, s6, 9
	s_mov_b32 s9, 0
	s_lshr_b64 s[10:11], s[12:13], 9
	s_lshl_b64 s[16:17], s[8:9], 3
	s_add_u32 s16, s18, s16
	s_mov_b32 s7, s9
	s_addc_u32 s17, s19, s17
	s_cmp_lg_u64 s[10:11], s[6:7]
	s_cbranch_scc0 .LBB24_6
; %bb.1:
	v_mov_b32_e32 v2, s17
	v_add_co_u32_e32 v1, vcc, s16, v6
	v_addc_co_u32_e32 v2, vcc, 0, v2, vcc
	flat_load_dwordx2 v[3:4], v[1:2]
	flat_load_dwordx2 v[9:10], v[1:2] offset:2048
	v_mbcnt_hi_u32_b32 v7, -1, v5
	v_lshlrev_b32_e32 v8, 2, v7
	v_or_b32_e32 v11, 0xfc, v8
	s_waitcnt vmcnt(0) lgkmcnt(0)
	v_cmp_lt_f32_e32 vcc, v9, v3
	v_cndmask_b32_e32 v1, v3, v9, vcc
	v_cmp_lt_f32_e32 vcc, v10, v4
	v_cndmask_b32_e32 v2, v4, v10, vcc
	;; [unrolled: 2-line block ×3, first 2 shown]
	v_cmp_lt_f32_e32 vcc, v4, v10
	v_mov_b32_dpp v9, v1 quad_perm:[1,0,3,2] row_mask:0xf bank_mask:0xf bound_ctrl:1
	v_cndmask_b32_e32 v4, v4, v10, vcc
	v_mov_b32_dpp v10, v2 quad_perm:[1,0,3,2] row_mask:0xf bank_mask:0xf bound_ctrl:1
	v_cmp_lt_f32_e32 vcc, v1, v9
	v_mov_b32_dpp v12, v3 quad_perm:[1,0,3,2] row_mask:0xf bank_mask:0xf bound_ctrl:1
	v_cndmask_b32_e32 v1, v9, v1, vcc
	v_cmp_lt_f32_e32 vcc, v2, v10
	v_mov_b32_dpp v13, v4 quad_perm:[1,0,3,2] row_mask:0xf bank_mask:0xf bound_ctrl:1
	v_cndmask_b32_e32 v2, v10, v2, vcc
	v_cmp_gt_f32_e32 vcc, v3, v12
	v_cndmask_b32_e32 v3, v12, v3, vcc
	v_cmp_gt_f32_e32 vcc, v4, v13
	v_mov_b32_dpp v9, v1 quad_perm:[2,3,0,1] row_mask:0xf bank_mask:0xf bound_ctrl:1
	v_cndmask_b32_e32 v4, v13, v4, vcc
	v_mov_b32_dpp v10, v2 quad_perm:[2,3,0,1] row_mask:0xf bank_mask:0xf bound_ctrl:1
	v_cmp_lt_f32_e32 vcc, v1, v9
	v_mov_b32_dpp v12, v3 quad_perm:[2,3,0,1] row_mask:0xf bank_mask:0xf bound_ctrl:1
	v_cndmask_b32_e32 v1, v9, v1, vcc
	v_cmp_lt_f32_e32 vcc, v2, v10
	v_mov_b32_dpp v13, v4 quad_perm:[2,3,0,1] row_mask:0xf bank_mask:0xf bound_ctrl:1
	v_cndmask_b32_e32 v2, v10, v2, vcc
	v_cmp_gt_f32_e32 vcc, v3, v12
	v_cndmask_b32_e32 v3, v12, v3, vcc
	v_cmp_gt_f32_e32 vcc, v4, v13
	v_mov_b32_dpp v9, v1 row_ror:4 row_mask:0xf bank_mask:0xf bound_ctrl:1
	v_cndmask_b32_e32 v4, v13, v4, vcc
	v_mov_b32_dpp v10, v2 row_ror:4 row_mask:0xf bank_mask:0xf bound_ctrl:1
	v_cmp_lt_f32_e32 vcc, v1, v9
	v_mov_b32_dpp v12, v3 row_ror:4 row_mask:0xf bank_mask:0xf bound_ctrl:1
	v_cndmask_b32_e32 v1, v9, v1, vcc
	v_cmp_lt_f32_e32 vcc, v2, v10
	v_mov_b32_dpp v13, v4 row_ror:4 row_mask:0xf bank_mask:0xf bound_ctrl:1
	v_cndmask_b32_e32 v2, v10, v2, vcc
	v_cmp_gt_f32_e32 vcc, v3, v12
	v_cndmask_b32_e32 v3, v12, v3, vcc
	v_cmp_gt_f32_e32 vcc, v4, v13
	v_mov_b32_dpp v9, v1 row_ror:8 row_mask:0xf bank_mask:0xf bound_ctrl:1
	v_cndmask_b32_e32 v4, v13, v4, vcc
	v_mov_b32_dpp v10, v2 row_ror:8 row_mask:0xf bank_mask:0xf bound_ctrl:1
	v_cmp_lt_f32_e32 vcc, v1, v9
	v_mov_b32_dpp v12, v3 row_ror:8 row_mask:0xf bank_mask:0xf bound_ctrl:1
	v_cndmask_b32_e32 v1, v9, v1, vcc
	v_cmp_lt_f32_e32 vcc, v2, v10
	v_mov_b32_dpp v13, v4 row_ror:8 row_mask:0xf bank_mask:0xf bound_ctrl:1
	v_cndmask_b32_e32 v2, v10, v2, vcc
	v_cmp_gt_f32_e32 vcc, v3, v12
	v_cndmask_b32_e32 v3, v12, v3, vcc
	v_cmp_gt_f32_e32 vcc, v4, v13
	v_mov_b32_dpp v9, v1 row_bcast:15 row_mask:0xf bank_mask:0xf bound_ctrl:1
	v_cndmask_b32_e32 v4, v13, v4, vcc
	v_mov_b32_dpp v10, v2 row_bcast:15 row_mask:0xf bank_mask:0xf bound_ctrl:1
	v_cmp_lt_f32_e32 vcc, v1, v9
	v_mov_b32_dpp v12, v3 row_bcast:15 row_mask:0xf bank_mask:0xf bound_ctrl:1
	v_cndmask_b32_e32 v1, v9, v1, vcc
	v_cmp_lt_f32_e32 vcc, v2, v10
	v_mov_b32_dpp v13, v4 row_bcast:15 row_mask:0xf bank_mask:0xf bound_ctrl:1
	v_cndmask_b32_e32 v2, v10, v2, vcc
	v_cmp_gt_f32_e32 vcc, v3, v12
	v_cndmask_b32_e32 v3, v12, v3, vcc
	v_cmp_gt_f32_e32 vcc, v4, v13
	v_mov_b32_dpp v9, v1 row_bcast:31 row_mask:0xf bank_mask:0xf bound_ctrl:1
	v_cndmask_b32_e32 v4, v13, v4, vcc
	v_mov_b32_dpp v10, v2 row_bcast:31 row_mask:0xf bank_mask:0xf bound_ctrl:1
	v_cmp_lt_f32_e32 vcc, v1, v9
	v_mov_b32_dpp v12, v3 row_bcast:31 row_mask:0xf bank_mask:0xf bound_ctrl:1
	v_cndmask_b32_e32 v1, v9, v1, vcc
	v_cmp_lt_f32_e32 vcc, v2, v10
	v_mov_b32_dpp v13, v4 row_bcast:31 row_mask:0xf bank_mask:0xf bound_ctrl:1
	v_cndmask_b32_e32 v2, v10, v2, vcc
	v_cmp_gt_f32_e32 vcc, v3, v12
	v_cndmask_b32_e32 v3, v12, v3, vcc
	v_cmp_gt_f32_e32 vcc, v4, v13
	v_cndmask_b32_e32 v4, v13, v4, vcc
	ds_bpermute_b32 v1, v11, v1
	ds_bpermute_b32 v2, v11, v2
	;; [unrolled: 1-line block ×4, first 2 shown]
	v_cmp_eq_u32_e32 vcc, 0, v7
	s_and_saveexec_b64 s[10:11], vcc
	s_cbranch_execz .LBB24_3
; %bb.2:
	v_lshrrev_b32_e32 v9, 2, v0
	v_and_b32_e32 v9, 48, v9
	s_waitcnt lgkmcnt(0)
	ds_write2_b64 v9, v[1:2], v[3:4] offset0:8 offset1:9
.LBB24_3:
	s_or_b64 exec, exec, s[10:11]
	v_cmp_gt_u32_e32 vcc, 64, v0
	s_waitcnt lgkmcnt(0)
	s_barrier
	s_and_saveexec_b64 s[10:11], vcc
	s_cbranch_execz .LBB24_5
; %bb.4:
	v_and_b32_e32 v9, 3, v7
	v_lshlrev_b32_e32 v1, 4, v9
	ds_read2_b64 v[1:4], v1 offset0:8 offset1:9
	v_cmp_ne_u32_e32 vcc, 3, v9
	v_addc_co_u32_e32 v7, vcc, 0, v7, vcc
	v_lshlrev_b32_e32 v7, 2, v7
	s_waitcnt lgkmcnt(0)
	ds_bpermute_b32 v9, v7, v1
	ds_bpermute_b32 v10, v7, v2
	;; [unrolled: 1-line block ×4, first 2 shown]
	v_or_b32_e32 v8, 8, v8
	s_waitcnt lgkmcnt(3)
	v_cmp_gt_f32_e32 vcc, v1, v9
	v_cndmask_b32_e32 v1, v1, v9, vcc
	s_waitcnt lgkmcnt(2)
	v_cmp_gt_f32_e32 vcc, v2, v10
	v_cndmask_b32_e32 v2, v2, v10, vcc
	s_waitcnt lgkmcnt(1)
	v_cmp_lt_f32_e32 vcc, v3, v11
	v_cndmask_b32_e32 v3, v3, v11, vcc
	ds_bpermute_b32 v9, v8, v1
	s_waitcnt lgkmcnt(1)
	v_cmp_lt_f32_e32 vcc, v4, v7
	v_cndmask_b32_e32 v4, v4, v7, vcc
	ds_bpermute_b32 v7, v8, v2
	ds_bpermute_b32 v10, v8, v3
	;; [unrolled: 1-line block ×3, first 2 shown]
	s_waitcnt lgkmcnt(3)
	v_cmp_gt_f32_e32 vcc, v1, v9
	v_cndmask_b32_e32 v1, v1, v9, vcc
	s_waitcnt lgkmcnt(2)
	v_cmp_gt_f32_e32 vcc, v2, v7
	v_cndmask_b32_e32 v2, v2, v7, vcc
	s_waitcnt lgkmcnt(1)
	v_cmp_lt_f32_e32 vcc, v3, v10
	v_cndmask_b32_e32 v3, v3, v10, vcc
	s_waitcnt lgkmcnt(0)
	v_cmp_lt_f32_e32 vcc, v4, v8
	v_cndmask_b32_e32 v4, v4, v8, vcc
.LBB24_5:
	s_or_b64 exec, exec, s[10:11]
	s_branch .LBB24_32
.LBB24_6:
                                        ; implicit-def: $vgpr4
	s_cbranch_execz .LBB24_32
; %bb.7:
	s_sub_i32 s10, s12, s8
	v_cmp_gt_u32_e32 vcc, s10, v0
	v_mov_b32_e32 v2, 0
	v_mov_b32_e32 v1, 0
	s_and_saveexec_b64 s[8:9], vcc
	s_cbranch_execz .LBB24_9
; %bb.8:
	v_mov_b32_e32 v2, s17
	v_add_co_u32_e32 v1, vcc, s16, v6
	v_addc_co_u32_e32 v2, vcc, 0, v2, vcc
	flat_load_dwordx2 v[1:2], v[1:2]
.LBB24_9:
	s_or_b64 exec, exec, s[8:9]
	v_or_b32_e32 v3, 0x100, v0
	v_cmp_gt_u32_e32 vcc, s10, v3
	s_waitcnt vmcnt(0) lgkmcnt(0)
	v_mov_b32_e32 v3, v1
	v_mov_b32_e32 v4, v2
	s_and_saveexec_b64 s[8:9], vcc
	s_cbranch_execz .LBB24_11
; %bb.10:
	v_mov_b32_e32 v4, s17
	v_add_co_u32_e32 v3, vcc, s16, v6
	v_addc_co_u32_e32 v4, vcc, 0, v4, vcc
	flat_load_dwordx2 v[3:4], v[3:4] offset:2048
	s_waitcnt vmcnt(0) lgkmcnt(0)
	v_cmp_lt_f32_e32 vcc, v3, v1
	v_cndmask_b32_e32 v6, v1, v3, vcc
	v_cmp_lt_f32_e32 vcc, v4, v2
	v_cndmask_b32_e32 v7, v2, v4, vcc
	v_cmp_lt_f32_e32 vcc, v1, v3
	v_cndmask_b32_e32 v3, v1, v3, vcc
	v_cmp_lt_f32_e32 vcc, v2, v4
	v_cndmask_b32_e32 v4, v2, v4, vcc
	v_mov_b32_e32 v2, v7
	v_mov_b32_e32 v1, v6
.LBB24_11:
	s_or_b64 exec, exec, s[8:9]
	v_mbcnt_hi_u32_b32 v5, -1, v5
	v_and_b32_e32 v6, 63, v5
	v_cmp_ne_u32_e32 vcc, 63, v6
	v_addc_co_u32_e32 v7, vcc, 0, v5, vcc
	v_lshlrev_b32_e32 v7, 2, v7
	ds_bpermute_b32 v11, v7, v1
	ds_bpermute_b32 v10, v7, v2
	ds_bpermute_b32 v9, v7, v3
	ds_bpermute_b32 v8, v7, v4
	s_min_u32 s10, s10, 0x100
	v_and_b32_e32 v7, 0xc0, v0
	v_sub_u32_e64 v7, s10, v7 clamp
	v_add_u32_e32 v12, 1, v6
	v_cmp_lt_u32_e32 vcc, v12, v7
	s_and_saveexec_b64 s[8:9], vcc
	s_xor_b64 s[8:9], exec, s[8:9]
	s_cbranch_execz .LBB24_13
; %bb.12:
	s_waitcnt lgkmcnt(3)
	v_cmp_gt_f32_e32 vcc, v1, v11
	v_cndmask_b32_e32 v1, v1, v11, vcc
	s_waitcnt lgkmcnt(2)
	v_cmp_gt_f32_e32 vcc, v2, v10
	v_cndmask_b32_e32 v2, v2, v10, vcc
	s_waitcnt lgkmcnt(1)
	v_cmp_lt_f32_e32 vcc, v3, v9
	v_cndmask_b32_e32 v3, v3, v9, vcc
	s_waitcnt lgkmcnt(0)
	v_cmp_lt_f32_e32 vcc, v4, v8
	v_cndmask_b32_e32 v4, v4, v8, vcc
.LBB24_13:
	s_or_b64 exec, exec, s[8:9]
	v_cmp_gt_u32_e32 vcc, 62, v6
	s_waitcnt lgkmcnt(0)
	v_cndmask_b32_e64 v8, 0, 2, vcc
	v_add_lshl_u32 v8, v8, v5, 2
	ds_bpermute_b32 v11, v8, v1
	ds_bpermute_b32 v10, v8, v2
	ds_bpermute_b32 v9, v8, v3
	ds_bpermute_b32 v8, v8, v4
	v_add_u32_e32 v12, 2, v6
	v_cmp_lt_u32_e32 vcc, v12, v7
	s_and_saveexec_b64 s[8:9], vcc
	s_cbranch_execz .LBB24_15
; %bb.14:
	s_waitcnt lgkmcnt(3)
	v_cmp_gt_f32_e32 vcc, v1, v11
	v_cndmask_b32_e32 v1, v1, v11, vcc
	s_waitcnt lgkmcnt(2)
	v_cmp_gt_f32_e32 vcc, v2, v10
	v_cndmask_b32_e32 v2, v2, v10, vcc
	s_waitcnt lgkmcnt(1)
	v_cmp_lt_f32_e32 vcc, v3, v9
	v_cndmask_b32_e32 v3, v3, v9, vcc
	s_waitcnt lgkmcnt(0)
	v_cmp_lt_f32_e32 vcc, v4, v8
	v_cndmask_b32_e32 v4, v4, v8, vcc
.LBB24_15:
	s_or_b64 exec, exec, s[8:9]
	v_cmp_gt_u32_e32 vcc, 60, v6
	s_waitcnt lgkmcnt(0)
	v_cndmask_b32_e64 v8, 0, 4, vcc
	v_add_lshl_u32 v8, v8, v5, 2
	ds_bpermute_b32 v11, v8, v1
	ds_bpermute_b32 v10, v8, v2
	ds_bpermute_b32 v9, v8, v3
	ds_bpermute_b32 v8, v8, v4
	v_add_u32_e32 v12, 4, v6
	v_cmp_lt_u32_e32 vcc, v12, v7
	s_and_saveexec_b64 s[8:9], vcc
	;; [unrolled: 27-line block ×4, first 2 shown]
	s_cbranch_execz .LBB24_21
; %bb.20:
	s_waitcnt lgkmcnt(3)
	v_cmp_gt_f32_e32 vcc, v1, v11
	v_cndmask_b32_e32 v1, v1, v11, vcc
	s_waitcnt lgkmcnt(2)
	v_cmp_gt_f32_e32 vcc, v2, v10
	v_cndmask_b32_e32 v2, v2, v10, vcc
	s_waitcnt lgkmcnt(1)
	v_cmp_lt_f32_e32 vcc, v3, v9
	v_cndmask_b32_e32 v3, v3, v9, vcc
	s_waitcnt lgkmcnt(0)
	v_cmp_lt_f32_e32 vcc, v4, v8
	v_cndmask_b32_e32 v4, v4, v8, vcc
.LBB24_21:
	s_or_b64 exec, exec, s[8:9]
	s_waitcnt lgkmcnt(0)
	v_lshlrev_b32_e32 v8, 2, v5
	v_or_b32_e32 v9, 0x80, v8
	ds_bpermute_b32 v12, v9, v1
	ds_bpermute_b32 v11, v9, v2
	;; [unrolled: 1-line block ×4, first 2 shown]
	v_add_u32_e32 v6, 32, v6
	v_cmp_lt_u32_e32 vcc, v6, v7
	s_and_saveexec_b64 s[8:9], vcc
	s_cbranch_execz .LBB24_23
; %bb.22:
	s_waitcnt lgkmcnt(3)
	v_cmp_gt_f32_e32 vcc, v1, v12
	v_cndmask_b32_e32 v1, v1, v12, vcc
	s_waitcnt lgkmcnt(2)
	v_cmp_gt_f32_e32 vcc, v2, v11
	v_cndmask_b32_e32 v2, v2, v11, vcc
	s_waitcnt lgkmcnt(1)
	v_cmp_lt_f32_e32 vcc, v3, v10
	v_cndmask_b32_e32 v3, v3, v10, vcc
	s_waitcnt lgkmcnt(0)
	v_cmp_lt_f32_e32 vcc, v4, v9
	v_cndmask_b32_e32 v4, v4, v9, vcc
.LBB24_23:
	s_or_b64 exec, exec, s[8:9]
	v_cmp_eq_u32_e32 vcc, 0, v5
	s_and_saveexec_b64 s[8:9], vcc
; %bb.24:
	v_lshrrev_b32_e32 v6, 2, v0
	v_and_b32_e32 v6, 48, v6
	ds_write2_b64 v6, v[1:2], v[3:4] offset1:1
; %bb.25:
	s_or_b64 exec, exec, s[8:9]
	v_cmp_gt_u32_e32 vcc, 4, v0
	s_waitcnt lgkmcnt(0)
	s_barrier
	s_and_saveexec_b64 s[8:9], vcc
	s_cbranch_execz .LBB24_31
; %bb.26:
	v_lshlrev_b32_e32 v1, 4, v5
	ds_read2_b64 v[1:4], v1 offset1:1
	v_and_b32_e32 v6, 3, v5
	v_cmp_ne_u32_e32 vcc, 3, v6
	v_addc_co_u32_e32 v5, vcc, 0, v5, vcc
	v_lshlrev_b32_e32 v5, 2, v5
	s_waitcnt lgkmcnt(0)
	ds_bpermute_b32 v10, v5, v1
	ds_bpermute_b32 v9, v5, v2
	;; [unrolled: 1-line block ×4, first 2 shown]
	s_add_i32 s10, s10, 63
	s_lshr_b32 s16, s10, 6
	v_add_u32_e32 v11, 1, v6
	v_cmp_gt_u32_e32 vcc, s16, v11
	s_and_saveexec_b64 s[10:11], vcc
	s_cbranch_execz .LBB24_28
; %bb.27:
	s_waitcnt lgkmcnt(3)
	v_cmp_gt_f32_e32 vcc, v1, v10
	v_cndmask_b32_e32 v1, v1, v10, vcc
	s_waitcnt lgkmcnt(2)
	v_cmp_gt_f32_e32 vcc, v2, v9
	v_cndmask_b32_e32 v2, v2, v9, vcc
	s_waitcnt lgkmcnt(1)
	v_cmp_lt_f32_e32 vcc, v3, v7
	v_cndmask_b32_e32 v3, v3, v7, vcc
	s_waitcnt lgkmcnt(0)
	v_cmp_lt_f32_e32 vcc, v4, v5
	v_cndmask_b32_e32 v4, v4, v5, vcc
.LBB24_28:
	s_or_b64 exec, exec, s[10:11]
	s_waitcnt lgkmcnt(0)
	v_or_b32_e32 v5, 8, v8
	ds_bpermute_b32 v9, v5, v1
	ds_bpermute_b32 v8, v5, v2
	;; [unrolled: 1-line block ×4, first 2 shown]
	v_add_u32_e32 v6, 2, v6
	v_cmp_gt_u32_e32 vcc, s16, v6
	s_and_saveexec_b64 s[10:11], vcc
	s_cbranch_execz .LBB24_30
; %bb.29:
	s_waitcnt lgkmcnt(3)
	v_cmp_gt_f32_e32 vcc, v1, v9
	v_cndmask_b32_e32 v1, v1, v9, vcc
	s_waitcnt lgkmcnt(2)
	v_cmp_gt_f32_e32 vcc, v2, v8
	v_cndmask_b32_e32 v2, v2, v8, vcc
	s_waitcnt lgkmcnt(1)
	v_cmp_lt_f32_e32 vcc, v3, v7
	v_cndmask_b32_e32 v3, v3, v7, vcc
	s_waitcnt lgkmcnt(0)
	v_cmp_lt_f32_e32 vcc, v4, v5
	v_cndmask_b32_e32 v4, v4, v5, vcc
.LBB24_30:
	s_or_b64 exec, exec, s[10:11]
.LBB24_31:
	s_or_b64 exec, exec, s[8:9]
.LBB24_32:
	s_load_dwordx4 s[8:11], s[4:5], 0x30
	v_cmp_eq_u32_e32 vcc, 0, v0
	s_and_saveexec_b64 s[4:5], vcc
	s_cbranch_execnz .LBB24_34
; %bb.33:
	s_endpgm
.LBB24_34:
	s_mul_i32 s1, s2, s1
	s_mul_hi_u32 s4, s2, s0
	s_add_i32 s1, s4, s1
	s_mul_i32 s3, s3, s0
	s_add_i32 s1, s1, s3
	s_mul_i32 s0, s2, s0
	s_lshl_b64 s[0:1], s[0:1], 4
	s_add_u32 s2, s14, s0
	s_addc_u32 s3, s15, s1
	s_cmp_eq_u64 s[12:13], 0
	s_waitcnt lgkmcnt(0)
	v_mov_b32_e32 v0, s11
	s_cselect_b64 vcc, -1, 0
	v_cndmask_b32_e32 v4, v4, v0, vcc
	v_mov_b32_e32 v0, s10
	v_cndmask_b32_e32 v3, v3, v0, vcc
	v_mov_b32_e32 v0, s9
	s_lshl_b64 s[0:1], s[6:7], 4
	v_cndmask_b32_e32 v2, v2, v0, vcc
	v_mov_b32_e32 v0, s8
	s_add_u32 s0, s2, s0
	v_cndmask_b32_e32 v1, v1, v0, vcc
	s_addc_u32 s1, s3, s1
	v_mov_b32_e32 v0, 0
	global_store_dwordx4 v0, v[1:4], s[0:1]
	s_endpgm
	.section	.rodata,"a",@progbits
	.p2align	6, 0x0
	.amdhsa_kernel _ZN7rocprim17ROCPRIM_400000_NS6detail17trampoline_kernelINS0_14default_configENS1_22reduce_config_selectorI7point2dEEZNS1_11reduce_implILb1ES3_N6thrust23THRUST_200600_302600_NS6detail15normal_iteratorINS9_10device_ptrIS5_EEEEP4bboxSF_14bbox_reductionEE10hipError_tPvRmT1_T2_T3_mT4_P12ihipStream_tbEUlT_E0_NS1_11comp_targetILNS1_3genE2ELNS1_11target_archE906ELNS1_3gpuE6ELNS1_3repE0EEENS1_30default_config_static_selectorELNS0_4arch9wavefront6targetE1EEEvSL_
		.amdhsa_group_segment_fixed_size 128
		.amdhsa_private_segment_fixed_size 0
		.amdhsa_kernarg_size 72
		.amdhsa_user_sgpr_count 6
		.amdhsa_user_sgpr_private_segment_buffer 1
		.amdhsa_user_sgpr_dispatch_ptr 0
		.amdhsa_user_sgpr_queue_ptr 0
		.amdhsa_user_sgpr_kernarg_segment_ptr 1
		.amdhsa_user_sgpr_dispatch_id 0
		.amdhsa_user_sgpr_flat_scratch_init 0
		.amdhsa_user_sgpr_private_segment_size 0
		.amdhsa_uses_dynamic_stack 0
		.amdhsa_system_sgpr_private_segment_wavefront_offset 0
		.amdhsa_system_sgpr_workgroup_id_x 1
		.amdhsa_system_sgpr_workgroup_id_y 0
		.amdhsa_system_sgpr_workgroup_id_z 0
		.amdhsa_system_sgpr_workgroup_info 0
		.amdhsa_system_vgpr_workitem_id 0
		.amdhsa_next_free_vgpr 14
		.amdhsa_next_free_sgpr 20
		.amdhsa_reserve_vcc 1
		.amdhsa_reserve_flat_scratch 0
		.amdhsa_float_round_mode_32 0
		.amdhsa_float_round_mode_16_64 0
		.amdhsa_float_denorm_mode_32 3
		.amdhsa_float_denorm_mode_16_64 3
		.amdhsa_dx10_clamp 1
		.amdhsa_ieee_mode 1
		.amdhsa_fp16_overflow 0
		.amdhsa_exception_fp_ieee_invalid_op 0
		.amdhsa_exception_fp_denorm_src 0
		.amdhsa_exception_fp_ieee_div_zero 0
		.amdhsa_exception_fp_ieee_overflow 0
		.amdhsa_exception_fp_ieee_underflow 0
		.amdhsa_exception_fp_ieee_inexact 0
		.amdhsa_exception_int_div_zero 0
	.end_amdhsa_kernel
	.section	.text._ZN7rocprim17ROCPRIM_400000_NS6detail17trampoline_kernelINS0_14default_configENS1_22reduce_config_selectorI7point2dEEZNS1_11reduce_implILb1ES3_N6thrust23THRUST_200600_302600_NS6detail15normal_iteratorINS9_10device_ptrIS5_EEEEP4bboxSF_14bbox_reductionEE10hipError_tPvRmT1_T2_T3_mT4_P12ihipStream_tbEUlT_E0_NS1_11comp_targetILNS1_3genE2ELNS1_11target_archE906ELNS1_3gpuE6ELNS1_3repE0EEENS1_30default_config_static_selectorELNS0_4arch9wavefront6targetE1EEEvSL_,"axG",@progbits,_ZN7rocprim17ROCPRIM_400000_NS6detail17trampoline_kernelINS0_14default_configENS1_22reduce_config_selectorI7point2dEEZNS1_11reduce_implILb1ES3_N6thrust23THRUST_200600_302600_NS6detail15normal_iteratorINS9_10device_ptrIS5_EEEEP4bboxSF_14bbox_reductionEE10hipError_tPvRmT1_T2_T3_mT4_P12ihipStream_tbEUlT_E0_NS1_11comp_targetILNS1_3genE2ELNS1_11target_archE906ELNS1_3gpuE6ELNS1_3repE0EEENS1_30default_config_static_selectorELNS0_4arch9wavefront6targetE1EEEvSL_,comdat
.Lfunc_end24:
	.size	_ZN7rocprim17ROCPRIM_400000_NS6detail17trampoline_kernelINS0_14default_configENS1_22reduce_config_selectorI7point2dEEZNS1_11reduce_implILb1ES3_N6thrust23THRUST_200600_302600_NS6detail15normal_iteratorINS9_10device_ptrIS5_EEEEP4bboxSF_14bbox_reductionEE10hipError_tPvRmT1_T2_T3_mT4_P12ihipStream_tbEUlT_E0_NS1_11comp_targetILNS1_3genE2ELNS1_11target_archE906ELNS1_3gpuE6ELNS1_3repE0EEENS1_30default_config_static_selectorELNS0_4arch9wavefront6targetE1EEEvSL_, .Lfunc_end24-_ZN7rocprim17ROCPRIM_400000_NS6detail17trampoline_kernelINS0_14default_configENS1_22reduce_config_selectorI7point2dEEZNS1_11reduce_implILb1ES3_N6thrust23THRUST_200600_302600_NS6detail15normal_iteratorINS9_10device_ptrIS5_EEEEP4bboxSF_14bbox_reductionEE10hipError_tPvRmT1_T2_T3_mT4_P12ihipStream_tbEUlT_E0_NS1_11comp_targetILNS1_3genE2ELNS1_11target_archE906ELNS1_3gpuE6ELNS1_3repE0EEENS1_30default_config_static_selectorELNS0_4arch9wavefront6targetE1EEEvSL_
                                        ; -- End function
	.set _ZN7rocprim17ROCPRIM_400000_NS6detail17trampoline_kernelINS0_14default_configENS1_22reduce_config_selectorI7point2dEEZNS1_11reduce_implILb1ES3_N6thrust23THRUST_200600_302600_NS6detail15normal_iteratorINS9_10device_ptrIS5_EEEEP4bboxSF_14bbox_reductionEE10hipError_tPvRmT1_T2_T3_mT4_P12ihipStream_tbEUlT_E0_NS1_11comp_targetILNS1_3genE2ELNS1_11target_archE906ELNS1_3gpuE6ELNS1_3repE0EEENS1_30default_config_static_selectorELNS0_4arch9wavefront6targetE1EEEvSL_.num_vgpr, 14
	.set _ZN7rocprim17ROCPRIM_400000_NS6detail17trampoline_kernelINS0_14default_configENS1_22reduce_config_selectorI7point2dEEZNS1_11reduce_implILb1ES3_N6thrust23THRUST_200600_302600_NS6detail15normal_iteratorINS9_10device_ptrIS5_EEEEP4bboxSF_14bbox_reductionEE10hipError_tPvRmT1_T2_T3_mT4_P12ihipStream_tbEUlT_E0_NS1_11comp_targetILNS1_3genE2ELNS1_11target_archE906ELNS1_3gpuE6ELNS1_3repE0EEENS1_30default_config_static_selectorELNS0_4arch9wavefront6targetE1EEEvSL_.num_agpr, 0
	.set _ZN7rocprim17ROCPRIM_400000_NS6detail17trampoline_kernelINS0_14default_configENS1_22reduce_config_selectorI7point2dEEZNS1_11reduce_implILb1ES3_N6thrust23THRUST_200600_302600_NS6detail15normal_iteratorINS9_10device_ptrIS5_EEEEP4bboxSF_14bbox_reductionEE10hipError_tPvRmT1_T2_T3_mT4_P12ihipStream_tbEUlT_E0_NS1_11comp_targetILNS1_3genE2ELNS1_11target_archE906ELNS1_3gpuE6ELNS1_3repE0EEENS1_30default_config_static_selectorELNS0_4arch9wavefront6targetE1EEEvSL_.numbered_sgpr, 20
	.set _ZN7rocprim17ROCPRIM_400000_NS6detail17trampoline_kernelINS0_14default_configENS1_22reduce_config_selectorI7point2dEEZNS1_11reduce_implILb1ES3_N6thrust23THRUST_200600_302600_NS6detail15normal_iteratorINS9_10device_ptrIS5_EEEEP4bboxSF_14bbox_reductionEE10hipError_tPvRmT1_T2_T3_mT4_P12ihipStream_tbEUlT_E0_NS1_11comp_targetILNS1_3genE2ELNS1_11target_archE906ELNS1_3gpuE6ELNS1_3repE0EEENS1_30default_config_static_selectorELNS0_4arch9wavefront6targetE1EEEvSL_.num_named_barrier, 0
	.set _ZN7rocprim17ROCPRIM_400000_NS6detail17trampoline_kernelINS0_14default_configENS1_22reduce_config_selectorI7point2dEEZNS1_11reduce_implILb1ES3_N6thrust23THRUST_200600_302600_NS6detail15normal_iteratorINS9_10device_ptrIS5_EEEEP4bboxSF_14bbox_reductionEE10hipError_tPvRmT1_T2_T3_mT4_P12ihipStream_tbEUlT_E0_NS1_11comp_targetILNS1_3genE2ELNS1_11target_archE906ELNS1_3gpuE6ELNS1_3repE0EEENS1_30default_config_static_selectorELNS0_4arch9wavefront6targetE1EEEvSL_.private_seg_size, 0
	.set _ZN7rocprim17ROCPRIM_400000_NS6detail17trampoline_kernelINS0_14default_configENS1_22reduce_config_selectorI7point2dEEZNS1_11reduce_implILb1ES3_N6thrust23THRUST_200600_302600_NS6detail15normal_iteratorINS9_10device_ptrIS5_EEEEP4bboxSF_14bbox_reductionEE10hipError_tPvRmT1_T2_T3_mT4_P12ihipStream_tbEUlT_E0_NS1_11comp_targetILNS1_3genE2ELNS1_11target_archE906ELNS1_3gpuE6ELNS1_3repE0EEENS1_30default_config_static_selectorELNS0_4arch9wavefront6targetE1EEEvSL_.uses_vcc, 1
	.set _ZN7rocprim17ROCPRIM_400000_NS6detail17trampoline_kernelINS0_14default_configENS1_22reduce_config_selectorI7point2dEEZNS1_11reduce_implILb1ES3_N6thrust23THRUST_200600_302600_NS6detail15normal_iteratorINS9_10device_ptrIS5_EEEEP4bboxSF_14bbox_reductionEE10hipError_tPvRmT1_T2_T3_mT4_P12ihipStream_tbEUlT_E0_NS1_11comp_targetILNS1_3genE2ELNS1_11target_archE906ELNS1_3gpuE6ELNS1_3repE0EEENS1_30default_config_static_selectorELNS0_4arch9wavefront6targetE1EEEvSL_.uses_flat_scratch, 0
	.set _ZN7rocprim17ROCPRIM_400000_NS6detail17trampoline_kernelINS0_14default_configENS1_22reduce_config_selectorI7point2dEEZNS1_11reduce_implILb1ES3_N6thrust23THRUST_200600_302600_NS6detail15normal_iteratorINS9_10device_ptrIS5_EEEEP4bboxSF_14bbox_reductionEE10hipError_tPvRmT1_T2_T3_mT4_P12ihipStream_tbEUlT_E0_NS1_11comp_targetILNS1_3genE2ELNS1_11target_archE906ELNS1_3gpuE6ELNS1_3repE0EEENS1_30default_config_static_selectorELNS0_4arch9wavefront6targetE1EEEvSL_.has_dyn_sized_stack, 0
	.set _ZN7rocprim17ROCPRIM_400000_NS6detail17trampoline_kernelINS0_14default_configENS1_22reduce_config_selectorI7point2dEEZNS1_11reduce_implILb1ES3_N6thrust23THRUST_200600_302600_NS6detail15normal_iteratorINS9_10device_ptrIS5_EEEEP4bboxSF_14bbox_reductionEE10hipError_tPvRmT1_T2_T3_mT4_P12ihipStream_tbEUlT_E0_NS1_11comp_targetILNS1_3genE2ELNS1_11target_archE906ELNS1_3gpuE6ELNS1_3repE0EEENS1_30default_config_static_selectorELNS0_4arch9wavefront6targetE1EEEvSL_.has_recursion, 0
	.set _ZN7rocprim17ROCPRIM_400000_NS6detail17trampoline_kernelINS0_14default_configENS1_22reduce_config_selectorI7point2dEEZNS1_11reduce_implILb1ES3_N6thrust23THRUST_200600_302600_NS6detail15normal_iteratorINS9_10device_ptrIS5_EEEEP4bboxSF_14bbox_reductionEE10hipError_tPvRmT1_T2_T3_mT4_P12ihipStream_tbEUlT_E0_NS1_11comp_targetILNS1_3genE2ELNS1_11target_archE906ELNS1_3gpuE6ELNS1_3repE0EEENS1_30default_config_static_selectorELNS0_4arch9wavefront6targetE1EEEvSL_.has_indirect_call, 0
	.section	.AMDGPU.csdata,"",@progbits
; Kernel info:
; codeLenInByte = 2188
; TotalNumSgprs: 24
; NumVgprs: 14
; ScratchSize: 0
; MemoryBound: 0
; FloatMode: 240
; IeeeMode: 1
; LDSByteSize: 128 bytes/workgroup (compile time only)
; SGPRBlocks: 2
; VGPRBlocks: 3
; NumSGPRsForWavesPerEU: 24
; NumVGPRsForWavesPerEU: 14
; Occupancy: 10
; WaveLimiterHint : 1
; COMPUTE_PGM_RSRC2:SCRATCH_EN: 0
; COMPUTE_PGM_RSRC2:USER_SGPR: 6
; COMPUTE_PGM_RSRC2:TRAP_HANDLER: 0
; COMPUTE_PGM_RSRC2:TGID_X_EN: 1
; COMPUTE_PGM_RSRC2:TGID_Y_EN: 0
; COMPUTE_PGM_RSRC2:TGID_Z_EN: 0
; COMPUTE_PGM_RSRC2:TIDIG_COMP_CNT: 0
	.section	.text._ZN7rocprim17ROCPRIM_400000_NS6detail17trampoline_kernelINS0_14default_configENS1_22reduce_config_selectorI7point2dEEZNS1_11reduce_implILb1ES3_N6thrust23THRUST_200600_302600_NS6detail15normal_iteratorINS9_10device_ptrIS5_EEEEP4bboxSF_14bbox_reductionEE10hipError_tPvRmT1_T2_T3_mT4_P12ihipStream_tbEUlT_E0_NS1_11comp_targetILNS1_3genE10ELNS1_11target_archE1201ELNS1_3gpuE5ELNS1_3repE0EEENS1_30default_config_static_selectorELNS0_4arch9wavefront6targetE1EEEvSL_,"axG",@progbits,_ZN7rocprim17ROCPRIM_400000_NS6detail17trampoline_kernelINS0_14default_configENS1_22reduce_config_selectorI7point2dEEZNS1_11reduce_implILb1ES3_N6thrust23THRUST_200600_302600_NS6detail15normal_iteratorINS9_10device_ptrIS5_EEEEP4bboxSF_14bbox_reductionEE10hipError_tPvRmT1_T2_T3_mT4_P12ihipStream_tbEUlT_E0_NS1_11comp_targetILNS1_3genE10ELNS1_11target_archE1201ELNS1_3gpuE5ELNS1_3repE0EEENS1_30default_config_static_selectorELNS0_4arch9wavefront6targetE1EEEvSL_,comdat
	.protected	_ZN7rocprim17ROCPRIM_400000_NS6detail17trampoline_kernelINS0_14default_configENS1_22reduce_config_selectorI7point2dEEZNS1_11reduce_implILb1ES3_N6thrust23THRUST_200600_302600_NS6detail15normal_iteratorINS9_10device_ptrIS5_EEEEP4bboxSF_14bbox_reductionEE10hipError_tPvRmT1_T2_T3_mT4_P12ihipStream_tbEUlT_E0_NS1_11comp_targetILNS1_3genE10ELNS1_11target_archE1201ELNS1_3gpuE5ELNS1_3repE0EEENS1_30default_config_static_selectorELNS0_4arch9wavefront6targetE1EEEvSL_ ; -- Begin function _ZN7rocprim17ROCPRIM_400000_NS6detail17trampoline_kernelINS0_14default_configENS1_22reduce_config_selectorI7point2dEEZNS1_11reduce_implILb1ES3_N6thrust23THRUST_200600_302600_NS6detail15normal_iteratorINS9_10device_ptrIS5_EEEEP4bboxSF_14bbox_reductionEE10hipError_tPvRmT1_T2_T3_mT4_P12ihipStream_tbEUlT_E0_NS1_11comp_targetILNS1_3genE10ELNS1_11target_archE1201ELNS1_3gpuE5ELNS1_3repE0EEENS1_30default_config_static_selectorELNS0_4arch9wavefront6targetE1EEEvSL_
	.globl	_ZN7rocprim17ROCPRIM_400000_NS6detail17trampoline_kernelINS0_14default_configENS1_22reduce_config_selectorI7point2dEEZNS1_11reduce_implILb1ES3_N6thrust23THRUST_200600_302600_NS6detail15normal_iteratorINS9_10device_ptrIS5_EEEEP4bboxSF_14bbox_reductionEE10hipError_tPvRmT1_T2_T3_mT4_P12ihipStream_tbEUlT_E0_NS1_11comp_targetILNS1_3genE10ELNS1_11target_archE1201ELNS1_3gpuE5ELNS1_3repE0EEENS1_30default_config_static_selectorELNS0_4arch9wavefront6targetE1EEEvSL_
	.p2align	8
	.type	_ZN7rocprim17ROCPRIM_400000_NS6detail17trampoline_kernelINS0_14default_configENS1_22reduce_config_selectorI7point2dEEZNS1_11reduce_implILb1ES3_N6thrust23THRUST_200600_302600_NS6detail15normal_iteratorINS9_10device_ptrIS5_EEEEP4bboxSF_14bbox_reductionEE10hipError_tPvRmT1_T2_T3_mT4_P12ihipStream_tbEUlT_E0_NS1_11comp_targetILNS1_3genE10ELNS1_11target_archE1201ELNS1_3gpuE5ELNS1_3repE0EEENS1_30default_config_static_selectorELNS0_4arch9wavefront6targetE1EEEvSL_,@function
_ZN7rocprim17ROCPRIM_400000_NS6detail17trampoline_kernelINS0_14default_configENS1_22reduce_config_selectorI7point2dEEZNS1_11reduce_implILb1ES3_N6thrust23THRUST_200600_302600_NS6detail15normal_iteratorINS9_10device_ptrIS5_EEEEP4bboxSF_14bbox_reductionEE10hipError_tPvRmT1_T2_T3_mT4_P12ihipStream_tbEUlT_E0_NS1_11comp_targetILNS1_3genE10ELNS1_11target_archE1201ELNS1_3gpuE5ELNS1_3repE0EEENS1_30default_config_static_selectorELNS0_4arch9wavefront6targetE1EEEvSL_: ; @_ZN7rocprim17ROCPRIM_400000_NS6detail17trampoline_kernelINS0_14default_configENS1_22reduce_config_selectorI7point2dEEZNS1_11reduce_implILb1ES3_N6thrust23THRUST_200600_302600_NS6detail15normal_iteratorINS9_10device_ptrIS5_EEEEP4bboxSF_14bbox_reductionEE10hipError_tPvRmT1_T2_T3_mT4_P12ihipStream_tbEUlT_E0_NS1_11comp_targetILNS1_3genE10ELNS1_11target_archE1201ELNS1_3gpuE5ELNS1_3repE0EEENS1_30default_config_static_selectorELNS0_4arch9wavefront6targetE1EEEvSL_
; %bb.0:
	.section	.rodata,"a",@progbits
	.p2align	6, 0x0
	.amdhsa_kernel _ZN7rocprim17ROCPRIM_400000_NS6detail17trampoline_kernelINS0_14default_configENS1_22reduce_config_selectorI7point2dEEZNS1_11reduce_implILb1ES3_N6thrust23THRUST_200600_302600_NS6detail15normal_iteratorINS9_10device_ptrIS5_EEEEP4bboxSF_14bbox_reductionEE10hipError_tPvRmT1_T2_T3_mT4_P12ihipStream_tbEUlT_E0_NS1_11comp_targetILNS1_3genE10ELNS1_11target_archE1201ELNS1_3gpuE5ELNS1_3repE0EEENS1_30default_config_static_selectorELNS0_4arch9wavefront6targetE1EEEvSL_
		.amdhsa_group_segment_fixed_size 0
		.amdhsa_private_segment_fixed_size 0
		.amdhsa_kernarg_size 72
		.amdhsa_user_sgpr_count 6
		.amdhsa_user_sgpr_private_segment_buffer 1
		.amdhsa_user_sgpr_dispatch_ptr 0
		.amdhsa_user_sgpr_queue_ptr 0
		.amdhsa_user_sgpr_kernarg_segment_ptr 1
		.amdhsa_user_sgpr_dispatch_id 0
		.amdhsa_user_sgpr_flat_scratch_init 0
		.amdhsa_user_sgpr_private_segment_size 0
		.amdhsa_uses_dynamic_stack 0
		.amdhsa_system_sgpr_private_segment_wavefront_offset 0
		.amdhsa_system_sgpr_workgroup_id_x 1
		.amdhsa_system_sgpr_workgroup_id_y 0
		.amdhsa_system_sgpr_workgroup_id_z 0
		.amdhsa_system_sgpr_workgroup_info 0
		.amdhsa_system_vgpr_workitem_id 0
		.amdhsa_next_free_vgpr 1
		.amdhsa_next_free_sgpr 0
		.amdhsa_reserve_vcc 0
		.amdhsa_reserve_flat_scratch 0
		.amdhsa_float_round_mode_32 0
		.amdhsa_float_round_mode_16_64 0
		.amdhsa_float_denorm_mode_32 3
		.amdhsa_float_denorm_mode_16_64 3
		.amdhsa_dx10_clamp 1
		.amdhsa_ieee_mode 1
		.amdhsa_fp16_overflow 0
		.amdhsa_exception_fp_ieee_invalid_op 0
		.amdhsa_exception_fp_denorm_src 0
		.amdhsa_exception_fp_ieee_div_zero 0
		.amdhsa_exception_fp_ieee_overflow 0
		.amdhsa_exception_fp_ieee_underflow 0
		.amdhsa_exception_fp_ieee_inexact 0
		.amdhsa_exception_int_div_zero 0
	.end_amdhsa_kernel
	.section	.text._ZN7rocprim17ROCPRIM_400000_NS6detail17trampoline_kernelINS0_14default_configENS1_22reduce_config_selectorI7point2dEEZNS1_11reduce_implILb1ES3_N6thrust23THRUST_200600_302600_NS6detail15normal_iteratorINS9_10device_ptrIS5_EEEEP4bboxSF_14bbox_reductionEE10hipError_tPvRmT1_T2_T3_mT4_P12ihipStream_tbEUlT_E0_NS1_11comp_targetILNS1_3genE10ELNS1_11target_archE1201ELNS1_3gpuE5ELNS1_3repE0EEENS1_30default_config_static_selectorELNS0_4arch9wavefront6targetE1EEEvSL_,"axG",@progbits,_ZN7rocprim17ROCPRIM_400000_NS6detail17trampoline_kernelINS0_14default_configENS1_22reduce_config_selectorI7point2dEEZNS1_11reduce_implILb1ES3_N6thrust23THRUST_200600_302600_NS6detail15normal_iteratorINS9_10device_ptrIS5_EEEEP4bboxSF_14bbox_reductionEE10hipError_tPvRmT1_T2_T3_mT4_P12ihipStream_tbEUlT_E0_NS1_11comp_targetILNS1_3genE10ELNS1_11target_archE1201ELNS1_3gpuE5ELNS1_3repE0EEENS1_30default_config_static_selectorELNS0_4arch9wavefront6targetE1EEEvSL_,comdat
.Lfunc_end25:
	.size	_ZN7rocprim17ROCPRIM_400000_NS6detail17trampoline_kernelINS0_14default_configENS1_22reduce_config_selectorI7point2dEEZNS1_11reduce_implILb1ES3_N6thrust23THRUST_200600_302600_NS6detail15normal_iteratorINS9_10device_ptrIS5_EEEEP4bboxSF_14bbox_reductionEE10hipError_tPvRmT1_T2_T3_mT4_P12ihipStream_tbEUlT_E0_NS1_11comp_targetILNS1_3genE10ELNS1_11target_archE1201ELNS1_3gpuE5ELNS1_3repE0EEENS1_30default_config_static_selectorELNS0_4arch9wavefront6targetE1EEEvSL_, .Lfunc_end25-_ZN7rocprim17ROCPRIM_400000_NS6detail17trampoline_kernelINS0_14default_configENS1_22reduce_config_selectorI7point2dEEZNS1_11reduce_implILb1ES3_N6thrust23THRUST_200600_302600_NS6detail15normal_iteratorINS9_10device_ptrIS5_EEEEP4bboxSF_14bbox_reductionEE10hipError_tPvRmT1_T2_T3_mT4_P12ihipStream_tbEUlT_E0_NS1_11comp_targetILNS1_3genE10ELNS1_11target_archE1201ELNS1_3gpuE5ELNS1_3repE0EEENS1_30default_config_static_selectorELNS0_4arch9wavefront6targetE1EEEvSL_
                                        ; -- End function
	.set _ZN7rocprim17ROCPRIM_400000_NS6detail17trampoline_kernelINS0_14default_configENS1_22reduce_config_selectorI7point2dEEZNS1_11reduce_implILb1ES3_N6thrust23THRUST_200600_302600_NS6detail15normal_iteratorINS9_10device_ptrIS5_EEEEP4bboxSF_14bbox_reductionEE10hipError_tPvRmT1_T2_T3_mT4_P12ihipStream_tbEUlT_E0_NS1_11comp_targetILNS1_3genE10ELNS1_11target_archE1201ELNS1_3gpuE5ELNS1_3repE0EEENS1_30default_config_static_selectorELNS0_4arch9wavefront6targetE1EEEvSL_.num_vgpr, 0
	.set _ZN7rocprim17ROCPRIM_400000_NS6detail17trampoline_kernelINS0_14default_configENS1_22reduce_config_selectorI7point2dEEZNS1_11reduce_implILb1ES3_N6thrust23THRUST_200600_302600_NS6detail15normal_iteratorINS9_10device_ptrIS5_EEEEP4bboxSF_14bbox_reductionEE10hipError_tPvRmT1_T2_T3_mT4_P12ihipStream_tbEUlT_E0_NS1_11comp_targetILNS1_3genE10ELNS1_11target_archE1201ELNS1_3gpuE5ELNS1_3repE0EEENS1_30default_config_static_selectorELNS0_4arch9wavefront6targetE1EEEvSL_.num_agpr, 0
	.set _ZN7rocprim17ROCPRIM_400000_NS6detail17trampoline_kernelINS0_14default_configENS1_22reduce_config_selectorI7point2dEEZNS1_11reduce_implILb1ES3_N6thrust23THRUST_200600_302600_NS6detail15normal_iteratorINS9_10device_ptrIS5_EEEEP4bboxSF_14bbox_reductionEE10hipError_tPvRmT1_T2_T3_mT4_P12ihipStream_tbEUlT_E0_NS1_11comp_targetILNS1_3genE10ELNS1_11target_archE1201ELNS1_3gpuE5ELNS1_3repE0EEENS1_30default_config_static_selectorELNS0_4arch9wavefront6targetE1EEEvSL_.numbered_sgpr, 0
	.set _ZN7rocprim17ROCPRIM_400000_NS6detail17trampoline_kernelINS0_14default_configENS1_22reduce_config_selectorI7point2dEEZNS1_11reduce_implILb1ES3_N6thrust23THRUST_200600_302600_NS6detail15normal_iteratorINS9_10device_ptrIS5_EEEEP4bboxSF_14bbox_reductionEE10hipError_tPvRmT1_T2_T3_mT4_P12ihipStream_tbEUlT_E0_NS1_11comp_targetILNS1_3genE10ELNS1_11target_archE1201ELNS1_3gpuE5ELNS1_3repE0EEENS1_30default_config_static_selectorELNS0_4arch9wavefront6targetE1EEEvSL_.num_named_barrier, 0
	.set _ZN7rocprim17ROCPRIM_400000_NS6detail17trampoline_kernelINS0_14default_configENS1_22reduce_config_selectorI7point2dEEZNS1_11reduce_implILb1ES3_N6thrust23THRUST_200600_302600_NS6detail15normal_iteratorINS9_10device_ptrIS5_EEEEP4bboxSF_14bbox_reductionEE10hipError_tPvRmT1_T2_T3_mT4_P12ihipStream_tbEUlT_E0_NS1_11comp_targetILNS1_3genE10ELNS1_11target_archE1201ELNS1_3gpuE5ELNS1_3repE0EEENS1_30default_config_static_selectorELNS0_4arch9wavefront6targetE1EEEvSL_.private_seg_size, 0
	.set _ZN7rocprim17ROCPRIM_400000_NS6detail17trampoline_kernelINS0_14default_configENS1_22reduce_config_selectorI7point2dEEZNS1_11reduce_implILb1ES3_N6thrust23THRUST_200600_302600_NS6detail15normal_iteratorINS9_10device_ptrIS5_EEEEP4bboxSF_14bbox_reductionEE10hipError_tPvRmT1_T2_T3_mT4_P12ihipStream_tbEUlT_E0_NS1_11comp_targetILNS1_3genE10ELNS1_11target_archE1201ELNS1_3gpuE5ELNS1_3repE0EEENS1_30default_config_static_selectorELNS0_4arch9wavefront6targetE1EEEvSL_.uses_vcc, 0
	.set _ZN7rocprim17ROCPRIM_400000_NS6detail17trampoline_kernelINS0_14default_configENS1_22reduce_config_selectorI7point2dEEZNS1_11reduce_implILb1ES3_N6thrust23THRUST_200600_302600_NS6detail15normal_iteratorINS9_10device_ptrIS5_EEEEP4bboxSF_14bbox_reductionEE10hipError_tPvRmT1_T2_T3_mT4_P12ihipStream_tbEUlT_E0_NS1_11comp_targetILNS1_3genE10ELNS1_11target_archE1201ELNS1_3gpuE5ELNS1_3repE0EEENS1_30default_config_static_selectorELNS0_4arch9wavefront6targetE1EEEvSL_.uses_flat_scratch, 0
	.set _ZN7rocprim17ROCPRIM_400000_NS6detail17trampoline_kernelINS0_14default_configENS1_22reduce_config_selectorI7point2dEEZNS1_11reduce_implILb1ES3_N6thrust23THRUST_200600_302600_NS6detail15normal_iteratorINS9_10device_ptrIS5_EEEEP4bboxSF_14bbox_reductionEE10hipError_tPvRmT1_T2_T3_mT4_P12ihipStream_tbEUlT_E0_NS1_11comp_targetILNS1_3genE10ELNS1_11target_archE1201ELNS1_3gpuE5ELNS1_3repE0EEENS1_30default_config_static_selectorELNS0_4arch9wavefront6targetE1EEEvSL_.has_dyn_sized_stack, 0
	.set _ZN7rocprim17ROCPRIM_400000_NS6detail17trampoline_kernelINS0_14default_configENS1_22reduce_config_selectorI7point2dEEZNS1_11reduce_implILb1ES3_N6thrust23THRUST_200600_302600_NS6detail15normal_iteratorINS9_10device_ptrIS5_EEEEP4bboxSF_14bbox_reductionEE10hipError_tPvRmT1_T2_T3_mT4_P12ihipStream_tbEUlT_E0_NS1_11comp_targetILNS1_3genE10ELNS1_11target_archE1201ELNS1_3gpuE5ELNS1_3repE0EEENS1_30default_config_static_selectorELNS0_4arch9wavefront6targetE1EEEvSL_.has_recursion, 0
	.set _ZN7rocprim17ROCPRIM_400000_NS6detail17trampoline_kernelINS0_14default_configENS1_22reduce_config_selectorI7point2dEEZNS1_11reduce_implILb1ES3_N6thrust23THRUST_200600_302600_NS6detail15normal_iteratorINS9_10device_ptrIS5_EEEEP4bboxSF_14bbox_reductionEE10hipError_tPvRmT1_T2_T3_mT4_P12ihipStream_tbEUlT_E0_NS1_11comp_targetILNS1_3genE10ELNS1_11target_archE1201ELNS1_3gpuE5ELNS1_3repE0EEENS1_30default_config_static_selectorELNS0_4arch9wavefront6targetE1EEEvSL_.has_indirect_call, 0
	.section	.AMDGPU.csdata,"",@progbits
; Kernel info:
; codeLenInByte = 0
; TotalNumSgprs: 4
; NumVgprs: 0
; ScratchSize: 0
; MemoryBound: 0
; FloatMode: 240
; IeeeMode: 1
; LDSByteSize: 0 bytes/workgroup (compile time only)
; SGPRBlocks: 0
; VGPRBlocks: 0
; NumSGPRsForWavesPerEU: 4
; NumVGPRsForWavesPerEU: 1
; Occupancy: 10
; WaveLimiterHint : 0
; COMPUTE_PGM_RSRC2:SCRATCH_EN: 0
; COMPUTE_PGM_RSRC2:USER_SGPR: 6
; COMPUTE_PGM_RSRC2:TRAP_HANDLER: 0
; COMPUTE_PGM_RSRC2:TGID_X_EN: 1
; COMPUTE_PGM_RSRC2:TGID_Y_EN: 0
; COMPUTE_PGM_RSRC2:TGID_Z_EN: 0
; COMPUTE_PGM_RSRC2:TIDIG_COMP_CNT: 0
	.section	.text._ZN7rocprim17ROCPRIM_400000_NS6detail17trampoline_kernelINS0_14default_configENS1_22reduce_config_selectorI7point2dEEZNS1_11reduce_implILb1ES3_N6thrust23THRUST_200600_302600_NS6detail15normal_iteratorINS9_10device_ptrIS5_EEEEP4bboxSF_14bbox_reductionEE10hipError_tPvRmT1_T2_T3_mT4_P12ihipStream_tbEUlT_E0_NS1_11comp_targetILNS1_3genE10ELNS1_11target_archE1200ELNS1_3gpuE4ELNS1_3repE0EEENS1_30default_config_static_selectorELNS0_4arch9wavefront6targetE1EEEvSL_,"axG",@progbits,_ZN7rocprim17ROCPRIM_400000_NS6detail17trampoline_kernelINS0_14default_configENS1_22reduce_config_selectorI7point2dEEZNS1_11reduce_implILb1ES3_N6thrust23THRUST_200600_302600_NS6detail15normal_iteratorINS9_10device_ptrIS5_EEEEP4bboxSF_14bbox_reductionEE10hipError_tPvRmT1_T2_T3_mT4_P12ihipStream_tbEUlT_E0_NS1_11comp_targetILNS1_3genE10ELNS1_11target_archE1200ELNS1_3gpuE4ELNS1_3repE0EEENS1_30default_config_static_selectorELNS0_4arch9wavefront6targetE1EEEvSL_,comdat
	.protected	_ZN7rocprim17ROCPRIM_400000_NS6detail17trampoline_kernelINS0_14default_configENS1_22reduce_config_selectorI7point2dEEZNS1_11reduce_implILb1ES3_N6thrust23THRUST_200600_302600_NS6detail15normal_iteratorINS9_10device_ptrIS5_EEEEP4bboxSF_14bbox_reductionEE10hipError_tPvRmT1_T2_T3_mT4_P12ihipStream_tbEUlT_E0_NS1_11comp_targetILNS1_3genE10ELNS1_11target_archE1200ELNS1_3gpuE4ELNS1_3repE0EEENS1_30default_config_static_selectorELNS0_4arch9wavefront6targetE1EEEvSL_ ; -- Begin function _ZN7rocprim17ROCPRIM_400000_NS6detail17trampoline_kernelINS0_14default_configENS1_22reduce_config_selectorI7point2dEEZNS1_11reduce_implILb1ES3_N6thrust23THRUST_200600_302600_NS6detail15normal_iteratorINS9_10device_ptrIS5_EEEEP4bboxSF_14bbox_reductionEE10hipError_tPvRmT1_T2_T3_mT4_P12ihipStream_tbEUlT_E0_NS1_11comp_targetILNS1_3genE10ELNS1_11target_archE1200ELNS1_3gpuE4ELNS1_3repE0EEENS1_30default_config_static_selectorELNS0_4arch9wavefront6targetE1EEEvSL_
	.globl	_ZN7rocprim17ROCPRIM_400000_NS6detail17trampoline_kernelINS0_14default_configENS1_22reduce_config_selectorI7point2dEEZNS1_11reduce_implILb1ES3_N6thrust23THRUST_200600_302600_NS6detail15normal_iteratorINS9_10device_ptrIS5_EEEEP4bboxSF_14bbox_reductionEE10hipError_tPvRmT1_T2_T3_mT4_P12ihipStream_tbEUlT_E0_NS1_11comp_targetILNS1_3genE10ELNS1_11target_archE1200ELNS1_3gpuE4ELNS1_3repE0EEENS1_30default_config_static_selectorELNS0_4arch9wavefront6targetE1EEEvSL_
	.p2align	8
	.type	_ZN7rocprim17ROCPRIM_400000_NS6detail17trampoline_kernelINS0_14default_configENS1_22reduce_config_selectorI7point2dEEZNS1_11reduce_implILb1ES3_N6thrust23THRUST_200600_302600_NS6detail15normal_iteratorINS9_10device_ptrIS5_EEEEP4bboxSF_14bbox_reductionEE10hipError_tPvRmT1_T2_T3_mT4_P12ihipStream_tbEUlT_E0_NS1_11comp_targetILNS1_3genE10ELNS1_11target_archE1200ELNS1_3gpuE4ELNS1_3repE0EEENS1_30default_config_static_selectorELNS0_4arch9wavefront6targetE1EEEvSL_,@function
_ZN7rocprim17ROCPRIM_400000_NS6detail17trampoline_kernelINS0_14default_configENS1_22reduce_config_selectorI7point2dEEZNS1_11reduce_implILb1ES3_N6thrust23THRUST_200600_302600_NS6detail15normal_iteratorINS9_10device_ptrIS5_EEEEP4bboxSF_14bbox_reductionEE10hipError_tPvRmT1_T2_T3_mT4_P12ihipStream_tbEUlT_E0_NS1_11comp_targetILNS1_3genE10ELNS1_11target_archE1200ELNS1_3gpuE4ELNS1_3repE0EEENS1_30default_config_static_selectorELNS0_4arch9wavefront6targetE1EEEvSL_: ; @_ZN7rocprim17ROCPRIM_400000_NS6detail17trampoline_kernelINS0_14default_configENS1_22reduce_config_selectorI7point2dEEZNS1_11reduce_implILb1ES3_N6thrust23THRUST_200600_302600_NS6detail15normal_iteratorINS9_10device_ptrIS5_EEEEP4bboxSF_14bbox_reductionEE10hipError_tPvRmT1_T2_T3_mT4_P12ihipStream_tbEUlT_E0_NS1_11comp_targetILNS1_3genE10ELNS1_11target_archE1200ELNS1_3gpuE4ELNS1_3repE0EEENS1_30default_config_static_selectorELNS0_4arch9wavefront6targetE1EEEvSL_
; %bb.0:
	.section	.rodata,"a",@progbits
	.p2align	6, 0x0
	.amdhsa_kernel _ZN7rocprim17ROCPRIM_400000_NS6detail17trampoline_kernelINS0_14default_configENS1_22reduce_config_selectorI7point2dEEZNS1_11reduce_implILb1ES3_N6thrust23THRUST_200600_302600_NS6detail15normal_iteratorINS9_10device_ptrIS5_EEEEP4bboxSF_14bbox_reductionEE10hipError_tPvRmT1_T2_T3_mT4_P12ihipStream_tbEUlT_E0_NS1_11comp_targetILNS1_3genE10ELNS1_11target_archE1200ELNS1_3gpuE4ELNS1_3repE0EEENS1_30default_config_static_selectorELNS0_4arch9wavefront6targetE1EEEvSL_
		.amdhsa_group_segment_fixed_size 0
		.amdhsa_private_segment_fixed_size 0
		.amdhsa_kernarg_size 72
		.amdhsa_user_sgpr_count 6
		.amdhsa_user_sgpr_private_segment_buffer 1
		.amdhsa_user_sgpr_dispatch_ptr 0
		.amdhsa_user_sgpr_queue_ptr 0
		.amdhsa_user_sgpr_kernarg_segment_ptr 1
		.amdhsa_user_sgpr_dispatch_id 0
		.amdhsa_user_sgpr_flat_scratch_init 0
		.amdhsa_user_sgpr_private_segment_size 0
		.amdhsa_uses_dynamic_stack 0
		.amdhsa_system_sgpr_private_segment_wavefront_offset 0
		.amdhsa_system_sgpr_workgroup_id_x 1
		.amdhsa_system_sgpr_workgroup_id_y 0
		.amdhsa_system_sgpr_workgroup_id_z 0
		.amdhsa_system_sgpr_workgroup_info 0
		.amdhsa_system_vgpr_workitem_id 0
		.amdhsa_next_free_vgpr 1
		.amdhsa_next_free_sgpr 0
		.amdhsa_reserve_vcc 0
		.amdhsa_reserve_flat_scratch 0
		.amdhsa_float_round_mode_32 0
		.amdhsa_float_round_mode_16_64 0
		.amdhsa_float_denorm_mode_32 3
		.amdhsa_float_denorm_mode_16_64 3
		.amdhsa_dx10_clamp 1
		.amdhsa_ieee_mode 1
		.amdhsa_fp16_overflow 0
		.amdhsa_exception_fp_ieee_invalid_op 0
		.amdhsa_exception_fp_denorm_src 0
		.amdhsa_exception_fp_ieee_div_zero 0
		.amdhsa_exception_fp_ieee_overflow 0
		.amdhsa_exception_fp_ieee_underflow 0
		.amdhsa_exception_fp_ieee_inexact 0
		.amdhsa_exception_int_div_zero 0
	.end_amdhsa_kernel
	.section	.text._ZN7rocprim17ROCPRIM_400000_NS6detail17trampoline_kernelINS0_14default_configENS1_22reduce_config_selectorI7point2dEEZNS1_11reduce_implILb1ES3_N6thrust23THRUST_200600_302600_NS6detail15normal_iteratorINS9_10device_ptrIS5_EEEEP4bboxSF_14bbox_reductionEE10hipError_tPvRmT1_T2_T3_mT4_P12ihipStream_tbEUlT_E0_NS1_11comp_targetILNS1_3genE10ELNS1_11target_archE1200ELNS1_3gpuE4ELNS1_3repE0EEENS1_30default_config_static_selectorELNS0_4arch9wavefront6targetE1EEEvSL_,"axG",@progbits,_ZN7rocprim17ROCPRIM_400000_NS6detail17trampoline_kernelINS0_14default_configENS1_22reduce_config_selectorI7point2dEEZNS1_11reduce_implILb1ES3_N6thrust23THRUST_200600_302600_NS6detail15normal_iteratorINS9_10device_ptrIS5_EEEEP4bboxSF_14bbox_reductionEE10hipError_tPvRmT1_T2_T3_mT4_P12ihipStream_tbEUlT_E0_NS1_11comp_targetILNS1_3genE10ELNS1_11target_archE1200ELNS1_3gpuE4ELNS1_3repE0EEENS1_30default_config_static_selectorELNS0_4arch9wavefront6targetE1EEEvSL_,comdat
.Lfunc_end26:
	.size	_ZN7rocprim17ROCPRIM_400000_NS6detail17trampoline_kernelINS0_14default_configENS1_22reduce_config_selectorI7point2dEEZNS1_11reduce_implILb1ES3_N6thrust23THRUST_200600_302600_NS6detail15normal_iteratorINS9_10device_ptrIS5_EEEEP4bboxSF_14bbox_reductionEE10hipError_tPvRmT1_T2_T3_mT4_P12ihipStream_tbEUlT_E0_NS1_11comp_targetILNS1_3genE10ELNS1_11target_archE1200ELNS1_3gpuE4ELNS1_3repE0EEENS1_30default_config_static_selectorELNS0_4arch9wavefront6targetE1EEEvSL_, .Lfunc_end26-_ZN7rocprim17ROCPRIM_400000_NS6detail17trampoline_kernelINS0_14default_configENS1_22reduce_config_selectorI7point2dEEZNS1_11reduce_implILb1ES3_N6thrust23THRUST_200600_302600_NS6detail15normal_iteratorINS9_10device_ptrIS5_EEEEP4bboxSF_14bbox_reductionEE10hipError_tPvRmT1_T2_T3_mT4_P12ihipStream_tbEUlT_E0_NS1_11comp_targetILNS1_3genE10ELNS1_11target_archE1200ELNS1_3gpuE4ELNS1_3repE0EEENS1_30default_config_static_selectorELNS0_4arch9wavefront6targetE1EEEvSL_
                                        ; -- End function
	.set _ZN7rocprim17ROCPRIM_400000_NS6detail17trampoline_kernelINS0_14default_configENS1_22reduce_config_selectorI7point2dEEZNS1_11reduce_implILb1ES3_N6thrust23THRUST_200600_302600_NS6detail15normal_iteratorINS9_10device_ptrIS5_EEEEP4bboxSF_14bbox_reductionEE10hipError_tPvRmT1_T2_T3_mT4_P12ihipStream_tbEUlT_E0_NS1_11comp_targetILNS1_3genE10ELNS1_11target_archE1200ELNS1_3gpuE4ELNS1_3repE0EEENS1_30default_config_static_selectorELNS0_4arch9wavefront6targetE1EEEvSL_.num_vgpr, 0
	.set _ZN7rocprim17ROCPRIM_400000_NS6detail17trampoline_kernelINS0_14default_configENS1_22reduce_config_selectorI7point2dEEZNS1_11reduce_implILb1ES3_N6thrust23THRUST_200600_302600_NS6detail15normal_iteratorINS9_10device_ptrIS5_EEEEP4bboxSF_14bbox_reductionEE10hipError_tPvRmT1_T2_T3_mT4_P12ihipStream_tbEUlT_E0_NS1_11comp_targetILNS1_3genE10ELNS1_11target_archE1200ELNS1_3gpuE4ELNS1_3repE0EEENS1_30default_config_static_selectorELNS0_4arch9wavefront6targetE1EEEvSL_.num_agpr, 0
	.set _ZN7rocprim17ROCPRIM_400000_NS6detail17trampoline_kernelINS0_14default_configENS1_22reduce_config_selectorI7point2dEEZNS1_11reduce_implILb1ES3_N6thrust23THRUST_200600_302600_NS6detail15normal_iteratorINS9_10device_ptrIS5_EEEEP4bboxSF_14bbox_reductionEE10hipError_tPvRmT1_T2_T3_mT4_P12ihipStream_tbEUlT_E0_NS1_11comp_targetILNS1_3genE10ELNS1_11target_archE1200ELNS1_3gpuE4ELNS1_3repE0EEENS1_30default_config_static_selectorELNS0_4arch9wavefront6targetE1EEEvSL_.numbered_sgpr, 0
	.set _ZN7rocprim17ROCPRIM_400000_NS6detail17trampoline_kernelINS0_14default_configENS1_22reduce_config_selectorI7point2dEEZNS1_11reduce_implILb1ES3_N6thrust23THRUST_200600_302600_NS6detail15normal_iteratorINS9_10device_ptrIS5_EEEEP4bboxSF_14bbox_reductionEE10hipError_tPvRmT1_T2_T3_mT4_P12ihipStream_tbEUlT_E0_NS1_11comp_targetILNS1_3genE10ELNS1_11target_archE1200ELNS1_3gpuE4ELNS1_3repE0EEENS1_30default_config_static_selectorELNS0_4arch9wavefront6targetE1EEEvSL_.num_named_barrier, 0
	.set _ZN7rocprim17ROCPRIM_400000_NS6detail17trampoline_kernelINS0_14default_configENS1_22reduce_config_selectorI7point2dEEZNS1_11reduce_implILb1ES3_N6thrust23THRUST_200600_302600_NS6detail15normal_iteratorINS9_10device_ptrIS5_EEEEP4bboxSF_14bbox_reductionEE10hipError_tPvRmT1_T2_T3_mT4_P12ihipStream_tbEUlT_E0_NS1_11comp_targetILNS1_3genE10ELNS1_11target_archE1200ELNS1_3gpuE4ELNS1_3repE0EEENS1_30default_config_static_selectorELNS0_4arch9wavefront6targetE1EEEvSL_.private_seg_size, 0
	.set _ZN7rocprim17ROCPRIM_400000_NS6detail17trampoline_kernelINS0_14default_configENS1_22reduce_config_selectorI7point2dEEZNS1_11reduce_implILb1ES3_N6thrust23THRUST_200600_302600_NS6detail15normal_iteratorINS9_10device_ptrIS5_EEEEP4bboxSF_14bbox_reductionEE10hipError_tPvRmT1_T2_T3_mT4_P12ihipStream_tbEUlT_E0_NS1_11comp_targetILNS1_3genE10ELNS1_11target_archE1200ELNS1_3gpuE4ELNS1_3repE0EEENS1_30default_config_static_selectorELNS0_4arch9wavefront6targetE1EEEvSL_.uses_vcc, 0
	.set _ZN7rocprim17ROCPRIM_400000_NS6detail17trampoline_kernelINS0_14default_configENS1_22reduce_config_selectorI7point2dEEZNS1_11reduce_implILb1ES3_N6thrust23THRUST_200600_302600_NS6detail15normal_iteratorINS9_10device_ptrIS5_EEEEP4bboxSF_14bbox_reductionEE10hipError_tPvRmT1_T2_T3_mT4_P12ihipStream_tbEUlT_E0_NS1_11comp_targetILNS1_3genE10ELNS1_11target_archE1200ELNS1_3gpuE4ELNS1_3repE0EEENS1_30default_config_static_selectorELNS0_4arch9wavefront6targetE1EEEvSL_.uses_flat_scratch, 0
	.set _ZN7rocprim17ROCPRIM_400000_NS6detail17trampoline_kernelINS0_14default_configENS1_22reduce_config_selectorI7point2dEEZNS1_11reduce_implILb1ES3_N6thrust23THRUST_200600_302600_NS6detail15normal_iteratorINS9_10device_ptrIS5_EEEEP4bboxSF_14bbox_reductionEE10hipError_tPvRmT1_T2_T3_mT4_P12ihipStream_tbEUlT_E0_NS1_11comp_targetILNS1_3genE10ELNS1_11target_archE1200ELNS1_3gpuE4ELNS1_3repE0EEENS1_30default_config_static_selectorELNS0_4arch9wavefront6targetE1EEEvSL_.has_dyn_sized_stack, 0
	.set _ZN7rocprim17ROCPRIM_400000_NS6detail17trampoline_kernelINS0_14default_configENS1_22reduce_config_selectorI7point2dEEZNS1_11reduce_implILb1ES3_N6thrust23THRUST_200600_302600_NS6detail15normal_iteratorINS9_10device_ptrIS5_EEEEP4bboxSF_14bbox_reductionEE10hipError_tPvRmT1_T2_T3_mT4_P12ihipStream_tbEUlT_E0_NS1_11comp_targetILNS1_3genE10ELNS1_11target_archE1200ELNS1_3gpuE4ELNS1_3repE0EEENS1_30default_config_static_selectorELNS0_4arch9wavefront6targetE1EEEvSL_.has_recursion, 0
	.set _ZN7rocprim17ROCPRIM_400000_NS6detail17trampoline_kernelINS0_14default_configENS1_22reduce_config_selectorI7point2dEEZNS1_11reduce_implILb1ES3_N6thrust23THRUST_200600_302600_NS6detail15normal_iteratorINS9_10device_ptrIS5_EEEEP4bboxSF_14bbox_reductionEE10hipError_tPvRmT1_T2_T3_mT4_P12ihipStream_tbEUlT_E0_NS1_11comp_targetILNS1_3genE10ELNS1_11target_archE1200ELNS1_3gpuE4ELNS1_3repE0EEENS1_30default_config_static_selectorELNS0_4arch9wavefront6targetE1EEEvSL_.has_indirect_call, 0
	.section	.AMDGPU.csdata,"",@progbits
; Kernel info:
; codeLenInByte = 0
; TotalNumSgprs: 4
; NumVgprs: 0
; ScratchSize: 0
; MemoryBound: 0
; FloatMode: 240
; IeeeMode: 1
; LDSByteSize: 0 bytes/workgroup (compile time only)
; SGPRBlocks: 0
; VGPRBlocks: 0
; NumSGPRsForWavesPerEU: 4
; NumVGPRsForWavesPerEU: 1
; Occupancy: 10
; WaveLimiterHint : 0
; COMPUTE_PGM_RSRC2:SCRATCH_EN: 0
; COMPUTE_PGM_RSRC2:USER_SGPR: 6
; COMPUTE_PGM_RSRC2:TRAP_HANDLER: 0
; COMPUTE_PGM_RSRC2:TGID_X_EN: 1
; COMPUTE_PGM_RSRC2:TGID_Y_EN: 0
; COMPUTE_PGM_RSRC2:TGID_Z_EN: 0
; COMPUTE_PGM_RSRC2:TIDIG_COMP_CNT: 0
	.section	.text._ZN7rocprim17ROCPRIM_400000_NS6detail17trampoline_kernelINS0_14default_configENS1_22reduce_config_selectorI7point2dEEZNS1_11reduce_implILb1ES3_N6thrust23THRUST_200600_302600_NS6detail15normal_iteratorINS9_10device_ptrIS5_EEEEP4bboxSF_14bbox_reductionEE10hipError_tPvRmT1_T2_T3_mT4_P12ihipStream_tbEUlT_E0_NS1_11comp_targetILNS1_3genE9ELNS1_11target_archE1100ELNS1_3gpuE3ELNS1_3repE0EEENS1_30default_config_static_selectorELNS0_4arch9wavefront6targetE1EEEvSL_,"axG",@progbits,_ZN7rocprim17ROCPRIM_400000_NS6detail17trampoline_kernelINS0_14default_configENS1_22reduce_config_selectorI7point2dEEZNS1_11reduce_implILb1ES3_N6thrust23THRUST_200600_302600_NS6detail15normal_iteratorINS9_10device_ptrIS5_EEEEP4bboxSF_14bbox_reductionEE10hipError_tPvRmT1_T2_T3_mT4_P12ihipStream_tbEUlT_E0_NS1_11comp_targetILNS1_3genE9ELNS1_11target_archE1100ELNS1_3gpuE3ELNS1_3repE0EEENS1_30default_config_static_selectorELNS0_4arch9wavefront6targetE1EEEvSL_,comdat
	.protected	_ZN7rocprim17ROCPRIM_400000_NS6detail17trampoline_kernelINS0_14default_configENS1_22reduce_config_selectorI7point2dEEZNS1_11reduce_implILb1ES3_N6thrust23THRUST_200600_302600_NS6detail15normal_iteratorINS9_10device_ptrIS5_EEEEP4bboxSF_14bbox_reductionEE10hipError_tPvRmT1_T2_T3_mT4_P12ihipStream_tbEUlT_E0_NS1_11comp_targetILNS1_3genE9ELNS1_11target_archE1100ELNS1_3gpuE3ELNS1_3repE0EEENS1_30default_config_static_selectorELNS0_4arch9wavefront6targetE1EEEvSL_ ; -- Begin function _ZN7rocprim17ROCPRIM_400000_NS6detail17trampoline_kernelINS0_14default_configENS1_22reduce_config_selectorI7point2dEEZNS1_11reduce_implILb1ES3_N6thrust23THRUST_200600_302600_NS6detail15normal_iteratorINS9_10device_ptrIS5_EEEEP4bboxSF_14bbox_reductionEE10hipError_tPvRmT1_T2_T3_mT4_P12ihipStream_tbEUlT_E0_NS1_11comp_targetILNS1_3genE9ELNS1_11target_archE1100ELNS1_3gpuE3ELNS1_3repE0EEENS1_30default_config_static_selectorELNS0_4arch9wavefront6targetE1EEEvSL_
	.globl	_ZN7rocprim17ROCPRIM_400000_NS6detail17trampoline_kernelINS0_14default_configENS1_22reduce_config_selectorI7point2dEEZNS1_11reduce_implILb1ES3_N6thrust23THRUST_200600_302600_NS6detail15normal_iteratorINS9_10device_ptrIS5_EEEEP4bboxSF_14bbox_reductionEE10hipError_tPvRmT1_T2_T3_mT4_P12ihipStream_tbEUlT_E0_NS1_11comp_targetILNS1_3genE9ELNS1_11target_archE1100ELNS1_3gpuE3ELNS1_3repE0EEENS1_30default_config_static_selectorELNS0_4arch9wavefront6targetE1EEEvSL_
	.p2align	8
	.type	_ZN7rocprim17ROCPRIM_400000_NS6detail17trampoline_kernelINS0_14default_configENS1_22reduce_config_selectorI7point2dEEZNS1_11reduce_implILb1ES3_N6thrust23THRUST_200600_302600_NS6detail15normal_iteratorINS9_10device_ptrIS5_EEEEP4bboxSF_14bbox_reductionEE10hipError_tPvRmT1_T2_T3_mT4_P12ihipStream_tbEUlT_E0_NS1_11comp_targetILNS1_3genE9ELNS1_11target_archE1100ELNS1_3gpuE3ELNS1_3repE0EEENS1_30default_config_static_selectorELNS0_4arch9wavefront6targetE1EEEvSL_,@function
_ZN7rocprim17ROCPRIM_400000_NS6detail17trampoline_kernelINS0_14default_configENS1_22reduce_config_selectorI7point2dEEZNS1_11reduce_implILb1ES3_N6thrust23THRUST_200600_302600_NS6detail15normal_iteratorINS9_10device_ptrIS5_EEEEP4bboxSF_14bbox_reductionEE10hipError_tPvRmT1_T2_T3_mT4_P12ihipStream_tbEUlT_E0_NS1_11comp_targetILNS1_3genE9ELNS1_11target_archE1100ELNS1_3gpuE3ELNS1_3repE0EEENS1_30default_config_static_selectorELNS0_4arch9wavefront6targetE1EEEvSL_: ; @_ZN7rocprim17ROCPRIM_400000_NS6detail17trampoline_kernelINS0_14default_configENS1_22reduce_config_selectorI7point2dEEZNS1_11reduce_implILb1ES3_N6thrust23THRUST_200600_302600_NS6detail15normal_iteratorINS9_10device_ptrIS5_EEEEP4bboxSF_14bbox_reductionEE10hipError_tPvRmT1_T2_T3_mT4_P12ihipStream_tbEUlT_E0_NS1_11comp_targetILNS1_3genE9ELNS1_11target_archE1100ELNS1_3gpuE3ELNS1_3repE0EEENS1_30default_config_static_selectorELNS0_4arch9wavefront6targetE1EEEvSL_
; %bb.0:
	.section	.rodata,"a",@progbits
	.p2align	6, 0x0
	.amdhsa_kernel _ZN7rocprim17ROCPRIM_400000_NS6detail17trampoline_kernelINS0_14default_configENS1_22reduce_config_selectorI7point2dEEZNS1_11reduce_implILb1ES3_N6thrust23THRUST_200600_302600_NS6detail15normal_iteratorINS9_10device_ptrIS5_EEEEP4bboxSF_14bbox_reductionEE10hipError_tPvRmT1_T2_T3_mT4_P12ihipStream_tbEUlT_E0_NS1_11comp_targetILNS1_3genE9ELNS1_11target_archE1100ELNS1_3gpuE3ELNS1_3repE0EEENS1_30default_config_static_selectorELNS0_4arch9wavefront6targetE1EEEvSL_
		.amdhsa_group_segment_fixed_size 0
		.amdhsa_private_segment_fixed_size 0
		.amdhsa_kernarg_size 72
		.amdhsa_user_sgpr_count 6
		.amdhsa_user_sgpr_private_segment_buffer 1
		.amdhsa_user_sgpr_dispatch_ptr 0
		.amdhsa_user_sgpr_queue_ptr 0
		.amdhsa_user_sgpr_kernarg_segment_ptr 1
		.amdhsa_user_sgpr_dispatch_id 0
		.amdhsa_user_sgpr_flat_scratch_init 0
		.amdhsa_user_sgpr_private_segment_size 0
		.amdhsa_uses_dynamic_stack 0
		.amdhsa_system_sgpr_private_segment_wavefront_offset 0
		.amdhsa_system_sgpr_workgroup_id_x 1
		.amdhsa_system_sgpr_workgroup_id_y 0
		.amdhsa_system_sgpr_workgroup_id_z 0
		.amdhsa_system_sgpr_workgroup_info 0
		.amdhsa_system_vgpr_workitem_id 0
		.amdhsa_next_free_vgpr 1
		.amdhsa_next_free_sgpr 0
		.amdhsa_reserve_vcc 0
		.amdhsa_reserve_flat_scratch 0
		.amdhsa_float_round_mode_32 0
		.amdhsa_float_round_mode_16_64 0
		.amdhsa_float_denorm_mode_32 3
		.amdhsa_float_denorm_mode_16_64 3
		.amdhsa_dx10_clamp 1
		.amdhsa_ieee_mode 1
		.amdhsa_fp16_overflow 0
		.amdhsa_exception_fp_ieee_invalid_op 0
		.amdhsa_exception_fp_denorm_src 0
		.amdhsa_exception_fp_ieee_div_zero 0
		.amdhsa_exception_fp_ieee_overflow 0
		.amdhsa_exception_fp_ieee_underflow 0
		.amdhsa_exception_fp_ieee_inexact 0
		.amdhsa_exception_int_div_zero 0
	.end_amdhsa_kernel
	.section	.text._ZN7rocprim17ROCPRIM_400000_NS6detail17trampoline_kernelINS0_14default_configENS1_22reduce_config_selectorI7point2dEEZNS1_11reduce_implILb1ES3_N6thrust23THRUST_200600_302600_NS6detail15normal_iteratorINS9_10device_ptrIS5_EEEEP4bboxSF_14bbox_reductionEE10hipError_tPvRmT1_T2_T3_mT4_P12ihipStream_tbEUlT_E0_NS1_11comp_targetILNS1_3genE9ELNS1_11target_archE1100ELNS1_3gpuE3ELNS1_3repE0EEENS1_30default_config_static_selectorELNS0_4arch9wavefront6targetE1EEEvSL_,"axG",@progbits,_ZN7rocprim17ROCPRIM_400000_NS6detail17trampoline_kernelINS0_14default_configENS1_22reduce_config_selectorI7point2dEEZNS1_11reduce_implILb1ES3_N6thrust23THRUST_200600_302600_NS6detail15normal_iteratorINS9_10device_ptrIS5_EEEEP4bboxSF_14bbox_reductionEE10hipError_tPvRmT1_T2_T3_mT4_P12ihipStream_tbEUlT_E0_NS1_11comp_targetILNS1_3genE9ELNS1_11target_archE1100ELNS1_3gpuE3ELNS1_3repE0EEENS1_30default_config_static_selectorELNS0_4arch9wavefront6targetE1EEEvSL_,comdat
.Lfunc_end27:
	.size	_ZN7rocprim17ROCPRIM_400000_NS6detail17trampoline_kernelINS0_14default_configENS1_22reduce_config_selectorI7point2dEEZNS1_11reduce_implILb1ES3_N6thrust23THRUST_200600_302600_NS6detail15normal_iteratorINS9_10device_ptrIS5_EEEEP4bboxSF_14bbox_reductionEE10hipError_tPvRmT1_T2_T3_mT4_P12ihipStream_tbEUlT_E0_NS1_11comp_targetILNS1_3genE9ELNS1_11target_archE1100ELNS1_3gpuE3ELNS1_3repE0EEENS1_30default_config_static_selectorELNS0_4arch9wavefront6targetE1EEEvSL_, .Lfunc_end27-_ZN7rocprim17ROCPRIM_400000_NS6detail17trampoline_kernelINS0_14default_configENS1_22reduce_config_selectorI7point2dEEZNS1_11reduce_implILb1ES3_N6thrust23THRUST_200600_302600_NS6detail15normal_iteratorINS9_10device_ptrIS5_EEEEP4bboxSF_14bbox_reductionEE10hipError_tPvRmT1_T2_T3_mT4_P12ihipStream_tbEUlT_E0_NS1_11comp_targetILNS1_3genE9ELNS1_11target_archE1100ELNS1_3gpuE3ELNS1_3repE0EEENS1_30default_config_static_selectorELNS0_4arch9wavefront6targetE1EEEvSL_
                                        ; -- End function
	.set _ZN7rocprim17ROCPRIM_400000_NS6detail17trampoline_kernelINS0_14default_configENS1_22reduce_config_selectorI7point2dEEZNS1_11reduce_implILb1ES3_N6thrust23THRUST_200600_302600_NS6detail15normal_iteratorINS9_10device_ptrIS5_EEEEP4bboxSF_14bbox_reductionEE10hipError_tPvRmT1_T2_T3_mT4_P12ihipStream_tbEUlT_E0_NS1_11comp_targetILNS1_3genE9ELNS1_11target_archE1100ELNS1_3gpuE3ELNS1_3repE0EEENS1_30default_config_static_selectorELNS0_4arch9wavefront6targetE1EEEvSL_.num_vgpr, 0
	.set _ZN7rocprim17ROCPRIM_400000_NS6detail17trampoline_kernelINS0_14default_configENS1_22reduce_config_selectorI7point2dEEZNS1_11reduce_implILb1ES3_N6thrust23THRUST_200600_302600_NS6detail15normal_iteratorINS9_10device_ptrIS5_EEEEP4bboxSF_14bbox_reductionEE10hipError_tPvRmT1_T2_T3_mT4_P12ihipStream_tbEUlT_E0_NS1_11comp_targetILNS1_3genE9ELNS1_11target_archE1100ELNS1_3gpuE3ELNS1_3repE0EEENS1_30default_config_static_selectorELNS0_4arch9wavefront6targetE1EEEvSL_.num_agpr, 0
	.set _ZN7rocprim17ROCPRIM_400000_NS6detail17trampoline_kernelINS0_14default_configENS1_22reduce_config_selectorI7point2dEEZNS1_11reduce_implILb1ES3_N6thrust23THRUST_200600_302600_NS6detail15normal_iteratorINS9_10device_ptrIS5_EEEEP4bboxSF_14bbox_reductionEE10hipError_tPvRmT1_T2_T3_mT4_P12ihipStream_tbEUlT_E0_NS1_11comp_targetILNS1_3genE9ELNS1_11target_archE1100ELNS1_3gpuE3ELNS1_3repE0EEENS1_30default_config_static_selectorELNS0_4arch9wavefront6targetE1EEEvSL_.numbered_sgpr, 0
	.set _ZN7rocprim17ROCPRIM_400000_NS6detail17trampoline_kernelINS0_14default_configENS1_22reduce_config_selectorI7point2dEEZNS1_11reduce_implILb1ES3_N6thrust23THRUST_200600_302600_NS6detail15normal_iteratorINS9_10device_ptrIS5_EEEEP4bboxSF_14bbox_reductionEE10hipError_tPvRmT1_T2_T3_mT4_P12ihipStream_tbEUlT_E0_NS1_11comp_targetILNS1_3genE9ELNS1_11target_archE1100ELNS1_3gpuE3ELNS1_3repE0EEENS1_30default_config_static_selectorELNS0_4arch9wavefront6targetE1EEEvSL_.num_named_barrier, 0
	.set _ZN7rocprim17ROCPRIM_400000_NS6detail17trampoline_kernelINS0_14default_configENS1_22reduce_config_selectorI7point2dEEZNS1_11reduce_implILb1ES3_N6thrust23THRUST_200600_302600_NS6detail15normal_iteratorINS9_10device_ptrIS5_EEEEP4bboxSF_14bbox_reductionEE10hipError_tPvRmT1_T2_T3_mT4_P12ihipStream_tbEUlT_E0_NS1_11comp_targetILNS1_3genE9ELNS1_11target_archE1100ELNS1_3gpuE3ELNS1_3repE0EEENS1_30default_config_static_selectorELNS0_4arch9wavefront6targetE1EEEvSL_.private_seg_size, 0
	.set _ZN7rocprim17ROCPRIM_400000_NS6detail17trampoline_kernelINS0_14default_configENS1_22reduce_config_selectorI7point2dEEZNS1_11reduce_implILb1ES3_N6thrust23THRUST_200600_302600_NS6detail15normal_iteratorINS9_10device_ptrIS5_EEEEP4bboxSF_14bbox_reductionEE10hipError_tPvRmT1_T2_T3_mT4_P12ihipStream_tbEUlT_E0_NS1_11comp_targetILNS1_3genE9ELNS1_11target_archE1100ELNS1_3gpuE3ELNS1_3repE0EEENS1_30default_config_static_selectorELNS0_4arch9wavefront6targetE1EEEvSL_.uses_vcc, 0
	.set _ZN7rocprim17ROCPRIM_400000_NS6detail17trampoline_kernelINS0_14default_configENS1_22reduce_config_selectorI7point2dEEZNS1_11reduce_implILb1ES3_N6thrust23THRUST_200600_302600_NS6detail15normal_iteratorINS9_10device_ptrIS5_EEEEP4bboxSF_14bbox_reductionEE10hipError_tPvRmT1_T2_T3_mT4_P12ihipStream_tbEUlT_E0_NS1_11comp_targetILNS1_3genE9ELNS1_11target_archE1100ELNS1_3gpuE3ELNS1_3repE0EEENS1_30default_config_static_selectorELNS0_4arch9wavefront6targetE1EEEvSL_.uses_flat_scratch, 0
	.set _ZN7rocprim17ROCPRIM_400000_NS6detail17trampoline_kernelINS0_14default_configENS1_22reduce_config_selectorI7point2dEEZNS1_11reduce_implILb1ES3_N6thrust23THRUST_200600_302600_NS6detail15normal_iteratorINS9_10device_ptrIS5_EEEEP4bboxSF_14bbox_reductionEE10hipError_tPvRmT1_T2_T3_mT4_P12ihipStream_tbEUlT_E0_NS1_11comp_targetILNS1_3genE9ELNS1_11target_archE1100ELNS1_3gpuE3ELNS1_3repE0EEENS1_30default_config_static_selectorELNS0_4arch9wavefront6targetE1EEEvSL_.has_dyn_sized_stack, 0
	.set _ZN7rocprim17ROCPRIM_400000_NS6detail17trampoline_kernelINS0_14default_configENS1_22reduce_config_selectorI7point2dEEZNS1_11reduce_implILb1ES3_N6thrust23THRUST_200600_302600_NS6detail15normal_iteratorINS9_10device_ptrIS5_EEEEP4bboxSF_14bbox_reductionEE10hipError_tPvRmT1_T2_T3_mT4_P12ihipStream_tbEUlT_E0_NS1_11comp_targetILNS1_3genE9ELNS1_11target_archE1100ELNS1_3gpuE3ELNS1_3repE0EEENS1_30default_config_static_selectorELNS0_4arch9wavefront6targetE1EEEvSL_.has_recursion, 0
	.set _ZN7rocprim17ROCPRIM_400000_NS6detail17trampoline_kernelINS0_14default_configENS1_22reduce_config_selectorI7point2dEEZNS1_11reduce_implILb1ES3_N6thrust23THRUST_200600_302600_NS6detail15normal_iteratorINS9_10device_ptrIS5_EEEEP4bboxSF_14bbox_reductionEE10hipError_tPvRmT1_T2_T3_mT4_P12ihipStream_tbEUlT_E0_NS1_11comp_targetILNS1_3genE9ELNS1_11target_archE1100ELNS1_3gpuE3ELNS1_3repE0EEENS1_30default_config_static_selectorELNS0_4arch9wavefront6targetE1EEEvSL_.has_indirect_call, 0
	.section	.AMDGPU.csdata,"",@progbits
; Kernel info:
; codeLenInByte = 0
; TotalNumSgprs: 4
; NumVgprs: 0
; ScratchSize: 0
; MemoryBound: 0
; FloatMode: 240
; IeeeMode: 1
; LDSByteSize: 0 bytes/workgroup (compile time only)
; SGPRBlocks: 0
; VGPRBlocks: 0
; NumSGPRsForWavesPerEU: 4
; NumVGPRsForWavesPerEU: 1
; Occupancy: 10
; WaveLimiterHint : 0
; COMPUTE_PGM_RSRC2:SCRATCH_EN: 0
; COMPUTE_PGM_RSRC2:USER_SGPR: 6
; COMPUTE_PGM_RSRC2:TRAP_HANDLER: 0
; COMPUTE_PGM_RSRC2:TGID_X_EN: 1
; COMPUTE_PGM_RSRC2:TGID_Y_EN: 0
; COMPUTE_PGM_RSRC2:TGID_Z_EN: 0
; COMPUTE_PGM_RSRC2:TIDIG_COMP_CNT: 0
	.section	.text._ZN7rocprim17ROCPRIM_400000_NS6detail17trampoline_kernelINS0_14default_configENS1_22reduce_config_selectorI7point2dEEZNS1_11reduce_implILb1ES3_N6thrust23THRUST_200600_302600_NS6detail15normal_iteratorINS9_10device_ptrIS5_EEEEP4bboxSF_14bbox_reductionEE10hipError_tPvRmT1_T2_T3_mT4_P12ihipStream_tbEUlT_E0_NS1_11comp_targetILNS1_3genE8ELNS1_11target_archE1030ELNS1_3gpuE2ELNS1_3repE0EEENS1_30default_config_static_selectorELNS0_4arch9wavefront6targetE1EEEvSL_,"axG",@progbits,_ZN7rocprim17ROCPRIM_400000_NS6detail17trampoline_kernelINS0_14default_configENS1_22reduce_config_selectorI7point2dEEZNS1_11reduce_implILb1ES3_N6thrust23THRUST_200600_302600_NS6detail15normal_iteratorINS9_10device_ptrIS5_EEEEP4bboxSF_14bbox_reductionEE10hipError_tPvRmT1_T2_T3_mT4_P12ihipStream_tbEUlT_E0_NS1_11comp_targetILNS1_3genE8ELNS1_11target_archE1030ELNS1_3gpuE2ELNS1_3repE0EEENS1_30default_config_static_selectorELNS0_4arch9wavefront6targetE1EEEvSL_,comdat
	.protected	_ZN7rocprim17ROCPRIM_400000_NS6detail17trampoline_kernelINS0_14default_configENS1_22reduce_config_selectorI7point2dEEZNS1_11reduce_implILb1ES3_N6thrust23THRUST_200600_302600_NS6detail15normal_iteratorINS9_10device_ptrIS5_EEEEP4bboxSF_14bbox_reductionEE10hipError_tPvRmT1_T2_T3_mT4_P12ihipStream_tbEUlT_E0_NS1_11comp_targetILNS1_3genE8ELNS1_11target_archE1030ELNS1_3gpuE2ELNS1_3repE0EEENS1_30default_config_static_selectorELNS0_4arch9wavefront6targetE1EEEvSL_ ; -- Begin function _ZN7rocprim17ROCPRIM_400000_NS6detail17trampoline_kernelINS0_14default_configENS1_22reduce_config_selectorI7point2dEEZNS1_11reduce_implILb1ES3_N6thrust23THRUST_200600_302600_NS6detail15normal_iteratorINS9_10device_ptrIS5_EEEEP4bboxSF_14bbox_reductionEE10hipError_tPvRmT1_T2_T3_mT4_P12ihipStream_tbEUlT_E0_NS1_11comp_targetILNS1_3genE8ELNS1_11target_archE1030ELNS1_3gpuE2ELNS1_3repE0EEENS1_30default_config_static_selectorELNS0_4arch9wavefront6targetE1EEEvSL_
	.globl	_ZN7rocprim17ROCPRIM_400000_NS6detail17trampoline_kernelINS0_14default_configENS1_22reduce_config_selectorI7point2dEEZNS1_11reduce_implILb1ES3_N6thrust23THRUST_200600_302600_NS6detail15normal_iteratorINS9_10device_ptrIS5_EEEEP4bboxSF_14bbox_reductionEE10hipError_tPvRmT1_T2_T3_mT4_P12ihipStream_tbEUlT_E0_NS1_11comp_targetILNS1_3genE8ELNS1_11target_archE1030ELNS1_3gpuE2ELNS1_3repE0EEENS1_30default_config_static_selectorELNS0_4arch9wavefront6targetE1EEEvSL_
	.p2align	8
	.type	_ZN7rocprim17ROCPRIM_400000_NS6detail17trampoline_kernelINS0_14default_configENS1_22reduce_config_selectorI7point2dEEZNS1_11reduce_implILb1ES3_N6thrust23THRUST_200600_302600_NS6detail15normal_iteratorINS9_10device_ptrIS5_EEEEP4bboxSF_14bbox_reductionEE10hipError_tPvRmT1_T2_T3_mT4_P12ihipStream_tbEUlT_E0_NS1_11comp_targetILNS1_3genE8ELNS1_11target_archE1030ELNS1_3gpuE2ELNS1_3repE0EEENS1_30default_config_static_selectorELNS0_4arch9wavefront6targetE1EEEvSL_,@function
_ZN7rocprim17ROCPRIM_400000_NS6detail17trampoline_kernelINS0_14default_configENS1_22reduce_config_selectorI7point2dEEZNS1_11reduce_implILb1ES3_N6thrust23THRUST_200600_302600_NS6detail15normal_iteratorINS9_10device_ptrIS5_EEEEP4bboxSF_14bbox_reductionEE10hipError_tPvRmT1_T2_T3_mT4_P12ihipStream_tbEUlT_E0_NS1_11comp_targetILNS1_3genE8ELNS1_11target_archE1030ELNS1_3gpuE2ELNS1_3repE0EEENS1_30default_config_static_selectorELNS0_4arch9wavefront6targetE1EEEvSL_: ; @_ZN7rocprim17ROCPRIM_400000_NS6detail17trampoline_kernelINS0_14default_configENS1_22reduce_config_selectorI7point2dEEZNS1_11reduce_implILb1ES3_N6thrust23THRUST_200600_302600_NS6detail15normal_iteratorINS9_10device_ptrIS5_EEEEP4bboxSF_14bbox_reductionEE10hipError_tPvRmT1_T2_T3_mT4_P12ihipStream_tbEUlT_E0_NS1_11comp_targetILNS1_3genE8ELNS1_11target_archE1030ELNS1_3gpuE2ELNS1_3repE0EEENS1_30default_config_static_selectorELNS0_4arch9wavefront6targetE1EEEvSL_
; %bb.0:
	.section	.rodata,"a",@progbits
	.p2align	6, 0x0
	.amdhsa_kernel _ZN7rocprim17ROCPRIM_400000_NS6detail17trampoline_kernelINS0_14default_configENS1_22reduce_config_selectorI7point2dEEZNS1_11reduce_implILb1ES3_N6thrust23THRUST_200600_302600_NS6detail15normal_iteratorINS9_10device_ptrIS5_EEEEP4bboxSF_14bbox_reductionEE10hipError_tPvRmT1_T2_T3_mT4_P12ihipStream_tbEUlT_E0_NS1_11comp_targetILNS1_3genE8ELNS1_11target_archE1030ELNS1_3gpuE2ELNS1_3repE0EEENS1_30default_config_static_selectorELNS0_4arch9wavefront6targetE1EEEvSL_
		.amdhsa_group_segment_fixed_size 0
		.amdhsa_private_segment_fixed_size 0
		.amdhsa_kernarg_size 72
		.amdhsa_user_sgpr_count 6
		.amdhsa_user_sgpr_private_segment_buffer 1
		.amdhsa_user_sgpr_dispatch_ptr 0
		.amdhsa_user_sgpr_queue_ptr 0
		.amdhsa_user_sgpr_kernarg_segment_ptr 1
		.amdhsa_user_sgpr_dispatch_id 0
		.amdhsa_user_sgpr_flat_scratch_init 0
		.amdhsa_user_sgpr_private_segment_size 0
		.amdhsa_uses_dynamic_stack 0
		.amdhsa_system_sgpr_private_segment_wavefront_offset 0
		.amdhsa_system_sgpr_workgroup_id_x 1
		.amdhsa_system_sgpr_workgroup_id_y 0
		.amdhsa_system_sgpr_workgroup_id_z 0
		.amdhsa_system_sgpr_workgroup_info 0
		.amdhsa_system_vgpr_workitem_id 0
		.amdhsa_next_free_vgpr 1
		.amdhsa_next_free_sgpr 0
		.amdhsa_reserve_vcc 0
		.amdhsa_reserve_flat_scratch 0
		.amdhsa_float_round_mode_32 0
		.amdhsa_float_round_mode_16_64 0
		.amdhsa_float_denorm_mode_32 3
		.amdhsa_float_denorm_mode_16_64 3
		.amdhsa_dx10_clamp 1
		.amdhsa_ieee_mode 1
		.amdhsa_fp16_overflow 0
		.amdhsa_exception_fp_ieee_invalid_op 0
		.amdhsa_exception_fp_denorm_src 0
		.amdhsa_exception_fp_ieee_div_zero 0
		.amdhsa_exception_fp_ieee_overflow 0
		.amdhsa_exception_fp_ieee_underflow 0
		.amdhsa_exception_fp_ieee_inexact 0
		.amdhsa_exception_int_div_zero 0
	.end_amdhsa_kernel
	.section	.text._ZN7rocprim17ROCPRIM_400000_NS6detail17trampoline_kernelINS0_14default_configENS1_22reduce_config_selectorI7point2dEEZNS1_11reduce_implILb1ES3_N6thrust23THRUST_200600_302600_NS6detail15normal_iteratorINS9_10device_ptrIS5_EEEEP4bboxSF_14bbox_reductionEE10hipError_tPvRmT1_T2_T3_mT4_P12ihipStream_tbEUlT_E0_NS1_11comp_targetILNS1_3genE8ELNS1_11target_archE1030ELNS1_3gpuE2ELNS1_3repE0EEENS1_30default_config_static_selectorELNS0_4arch9wavefront6targetE1EEEvSL_,"axG",@progbits,_ZN7rocprim17ROCPRIM_400000_NS6detail17trampoline_kernelINS0_14default_configENS1_22reduce_config_selectorI7point2dEEZNS1_11reduce_implILb1ES3_N6thrust23THRUST_200600_302600_NS6detail15normal_iteratorINS9_10device_ptrIS5_EEEEP4bboxSF_14bbox_reductionEE10hipError_tPvRmT1_T2_T3_mT4_P12ihipStream_tbEUlT_E0_NS1_11comp_targetILNS1_3genE8ELNS1_11target_archE1030ELNS1_3gpuE2ELNS1_3repE0EEENS1_30default_config_static_selectorELNS0_4arch9wavefront6targetE1EEEvSL_,comdat
.Lfunc_end28:
	.size	_ZN7rocprim17ROCPRIM_400000_NS6detail17trampoline_kernelINS0_14default_configENS1_22reduce_config_selectorI7point2dEEZNS1_11reduce_implILb1ES3_N6thrust23THRUST_200600_302600_NS6detail15normal_iteratorINS9_10device_ptrIS5_EEEEP4bboxSF_14bbox_reductionEE10hipError_tPvRmT1_T2_T3_mT4_P12ihipStream_tbEUlT_E0_NS1_11comp_targetILNS1_3genE8ELNS1_11target_archE1030ELNS1_3gpuE2ELNS1_3repE0EEENS1_30default_config_static_selectorELNS0_4arch9wavefront6targetE1EEEvSL_, .Lfunc_end28-_ZN7rocprim17ROCPRIM_400000_NS6detail17trampoline_kernelINS0_14default_configENS1_22reduce_config_selectorI7point2dEEZNS1_11reduce_implILb1ES3_N6thrust23THRUST_200600_302600_NS6detail15normal_iteratorINS9_10device_ptrIS5_EEEEP4bboxSF_14bbox_reductionEE10hipError_tPvRmT1_T2_T3_mT4_P12ihipStream_tbEUlT_E0_NS1_11comp_targetILNS1_3genE8ELNS1_11target_archE1030ELNS1_3gpuE2ELNS1_3repE0EEENS1_30default_config_static_selectorELNS0_4arch9wavefront6targetE1EEEvSL_
                                        ; -- End function
	.set _ZN7rocprim17ROCPRIM_400000_NS6detail17trampoline_kernelINS0_14default_configENS1_22reduce_config_selectorI7point2dEEZNS1_11reduce_implILb1ES3_N6thrust23THRUST_200600_302600_NS6detail15normal_iteratorINS9_10device_ptrIS5_EEEEP4bboxSF_14bbox_reductionEE10hipError_tPvRmT1_T2_T3_mT4_P12ihipStream_tbEUlT_E0_NS1_11comp_targetILNS1_3genE8ELNS1_11target_archE1030ELNS1_3gpuE2ELNS1_3repE0EEENS1_30default_config_static_selectorELNS0_4arch9wavefront6targetE1EEEvSL_.num_vgpr, 0
	.set _ZN7rocprim17ROCPRIM_400000_NS6detail17trampoline_kernelINS0_14default_configENS1_22reduce_config_selectorI7point2dEEZNS1_11reduce_implILb1ES3_N6thrust23THRUST_200600_302600_NS6detail15normal_iteratorINS9_10device_ptrIS5_EEEEP4bboxSF_14bbox_reductionEE10hipError_tPvRmT1_T2_T3_mT4_P12ihipStream_tbEUlT_E0_NS1_11comp_targetILNS1_3genE8ELNS1_11target_archE1030ELNS1_3gpuE2ELNS1_3repE0EEENS1_30default_config_static_selectorELNS0_4arch9wavefront6targetE1EEEvSL_.num_agpr, 0
	.set _ZN7rocprim17ROCPRIM_400000_NS6detail17trampoline_kernelINS0_14default_configENS1_22reduce_config_selectorI7point2dEEZNS1_11reduce_implILb1ES3_N6thrust23THRUST_200600_302600_NS6detail15normal_iteratorINS9_10device_ptrIS5_EEEEP4bboxSF_14bbox_reductionEE10hipError_tPvRmT1_T2_T3_mT4_P12ihipStream_tbEUlT_E0_NS1_11comp_targetILNS1_3genE8ELNS1_11target_archE1030ELNS1_3gpuE2ELNS1_3repE0EEENS1_30default_config_static_selectorELNS0_4arch9wavefront6targetE1EEEvSL_.numbered_sgpr, 0
	.set _ZN7rocprim17ROCPRIM_400000_NS6detail17trampoline_kernelINS0_14default_configENS1_22reduce_config_selectorI7point2dEEZNS1_11reduce_implILb1ES3_N6thrust23THRUST_200600_302600_NS6detail15normal_iteratorINS9_10device_ptrIS5_EEEEP4bboxSF_14bbox_reductionEE10hipError_tPvRmT1_T2_T3_mT4_P12ihipStream_tbEUlT_E0_NS1_11comp_targetILNS1_3genE8ELNS1_11target_archE1030ELNS1_3gpuE2ELNS1_3repE0EEENS1_30default_config_static_selectorELNS0_4arch9wavefront6targetE1EEEvSL_.num_named_barrier, 0
	.set _ZN7rocprim17ROCPRIM_400000_NS6detail17trampoline_kernelINS0_14default_configENS1_22reduce_config_selectorI7point2dEEZNS1_11reduce_implILb1ES3_N6thrust23THRUST_200600_302600_NS6detail15normal_iteratorINS9_10device_ptrIS5_EEEEP4bboxSF_14bbox_reductionEE10hipError_tPvRmT1_T2_T3_mT4_P12ihipStream_tbEUlT_E0_NS1_11comp_targetILNS1_3genE8ELNS1_11target_archE1030ELNS1_3gpuE2ELNS1_3repE0EEENS1_30default_config_static_selectorELNS0_4arch9wavefront6targetE1EEEvSL_.private_seg_size, 0
	.set _ZN7rocprim17ROCPRIM_400000_NS6detail17trampoline_kernelINS0_14default_configENS1_22reduce_config_selectorI7point2dEEZNS1_11reduce_implILb1ES3_N6thrust23THRUST_200600_302600_NS6detail15normal_iteratorINS9_10device_ptrIS5_EEEEP4bboxSF_14bbox_reductionEE10hipError_tPvRmT1_T2_T3_mT4_P12ihipStream_tbEUlT_E0_NS1_11comp_targetILNS1_3genE8ELNS1_11target_archE1030ELNS1_3gpuE2ELNS1_3repE0EEENS1_30default_config_static_selectorELNS0_4arch9wavefront6targetE1EEEvSL_.uses_vcc, 0
	.set _ZN7rocprim17ROCPRIM_400000_NS6detail17trampoline_kernelINS0_14default_configENS1_22reduce_config_selectorI7point2dEEZNS1_11reduce_implILb1ES3_N6thrust23THRUST_200600_302600_NS6detail15normal_iteratorINS9_10device_ptrIS5_EEEEP4bboxSF_14bbox_reductionEE10hipError_tPvRmT1_T2_T3_mT4_P12ihipStream_tbEUlT_E0_NS1_11comp_targetILNS1_3genE8ELNS1_11target_archE1030ELNS1_3gpuE2ELNS1_3repE0EEENS1_30default_config_static_selectorELNS0_4arch9wavefront6targetE1EEEvSL_.uses_flat_scratch, 0
	.set _ZN7rocprim17ROCPRIM_400000_NS6detail17trampoline_kernelINS0_14default_configENS1_22reduce_config_selectorI7point2dEEZNS1_11reduce_implILb1ES3_N6thrust23THRUST_200600_302600_NS6detail15normal_iteratorINS9_10device_ptrIS5_EEEEP4bboxSF_14bbox_reductionEE10hipError_tPvRmT1_T2_T3_mT4_P12ihipStream_tbEUlT_E0_NS1_11comp_targetILNS1_3genE8ELNS1_11target_archE1030ELNS1_3gpuE2ELNS1_3repE0EEENS1_30default_config_static_selectorELNS0_4arch9wavefront6targetE1EEEvSL_.has_dyn_sized_stack, 0
	.set _ZN7rocprim17ROCPRIM_400000_NS6detail17trampoline_kernelINS0_14default_configENS1_22reduce_config_selectorI7point2dEEZNS1_11reduce_implILb1ES3_N6thrust23THRUST_200600_302600_NS6detail15normal_iteratorINS9_10device_ptrIS5_EEEEP4bboxSF_14bbox_reductionEE10hipError_tPvRmT1_T2_T3_mT4_P12ihipStream_tbEUlT_E0_NS1_11comp_targetILNS1_3genE8ELNS1_11target_archE1030ELNS1_3gpuE2ELNS1_3repE0EEENS1_30default_config_static_selectorELNS0_4arch9wavefront6targetE1EEEvSL_.has_recursion, 0
	.set _ZN7rocprim17ROCPRIM_400000_NS6detail17trampoline_kernelINS0_14default_configENS1_22reduce_config_selectorI7point2dEEZNS1_11reduce_implILb1ES3_N6thrust23THRUST_200600_302600_NS6detail15normal_iteratorINS9_10device_ptrIS5_EEEEP4bboxSF_14bbox_reductionEE10hipError_tPvRmT1_T2_T3_mT4_P12ihipStream_tbEUlT_E0_NS1_11comp_targetILNS1_3genE8ELNS1_11target_archE1030ELNS1_3gpuE2ELNS1_3repE0EEENS1_30default_config_static_selectorELNS0_4arch9wavefront6targetE1EEEvSL_.has_indirect_call, 0
	.section	.AMDGPU.csdata,"",@progbits
; Kernel info:
; codeLenInByte = 0
; TotalNumSgprs: 4
; NumVgprs: 0
; ScratchSize: 0
; MemoryBound: 0
; FloatMode: 240
; IeeeMode: 1
; LDSByteSize: 0 bytes/workgroup (compile time only)
; SGPRBlocks: 0
; VGPRBlocks: 0
; NumSGPRsForWavesPerEU: 4
; NumVGPRsForWavesPerEU: 1
; Occupancy: 10
; WaveLimiterHint : 0
; COMPUTE_PGM_RSRC2:SCRATCH_EN: 0
; COMPUTE_PGM_RSRC2:USER_SGPR: 6
; COMPUTE_PGM_RSRC2:TRAP_HANDLER: 0
; COMPUTE_PGM_RSRC2:TGID_X_EN: 1
; COMPUTE_PGM_RSRC2:TGID_Y_EN: 0
; COMPUTE_PGM_RSRC2:TGID_Z_EN: 0
; COMPUTE_PGM_RSRC2:TIDIG_COMP_CNT: 0
	.section	.text._ZN7rocprim17ROCPRIM_400000_NS6detail17trampoline_kernelINS0_14default_configENS1_22reduce_config_selectorI7point2dEEZNS1_11reduce_implILb1ES3_N6thrust23THRUST_200600_302600_NS6detail15normal_iteratorINS9_10device_ptrIS5_EEEEP4bboxSF_14bbox_reductionEE10hipError_tPvRmT1_T2_T3_mT4_P12ihipStream_tbEUlT_E1_NS1_11comp_targetILNS1_3genE0ELNS1_11target_archE4294967295ELNS1_3gpuE0ELNS1_3repE0EEENS1_30default_config_static_selectorELNS0_4arch9wavefront6targetE1EEEvSL_,"axG",@progbits,_ZN7rocprim17ROCPRIM_400000_NS6detail17trampoline_kernelINS0_14default_configENS1_22reduce_config_selectorI7point2dEEZNS1_11reduce_implILb1ES3_N6thrust23THRUST_200600_302600_NS6detail15normal_iteratorINS9_10device_ptrIS5_EEEEP4bboxSF_14bbox_reductionEE10hipError_tPvRmT1_T2_T3_mT4_P12ihipStream_tbEUlT_E1_NS1_11comp_targetILNS1_3genE0ELNS1_11target_archE4294967295ELNS1_3gpuE0ELNS1_3repE0EEENS1_30default_config_static_selectorELNS0_4arch9wavefront6targetE1EEEvSL_,comdat
	.protected	_ZN7rocprim17ROCPRIM_400000_NS6detail17trampoline_kernelINS0_14default_configENS1_22reduce_config_selectorI7point2dEEZNS1_11reduce_implILb1ES3_N6thrust23THRUST_200600_302600_NS6detail15normal_iteratorINS9_10device_ptrIS5_EEEEP4bboxSF_14bbox_reductionEE10hipError_tPvRmT1_T2_T3_mT4_P12ihipStream_tbEUlT_E1_NS1_11comp_targetILNS1_3genE0ELNS1_11target_archE4294967295ELNS1_3gpuE0ELNS1_3repE0EEENS1_30default_config_static_selectorELNS0_4arch9wavefront6targetE1EEEvSL_ ; -- Begin function _ZN7rocprim17ROCPRIM_400000_NS6detail17trampoline_kernelINS0_14default_configENS1_22reduce_config_selectorI7point2dEEZNS1_11reduce_implILb1ES3_N6thrust23THRUST_200600_302600_NS6detail15normal_iteratorINS9_10device_ptrIS5_EEEEP4bboxSF_14bbox_reductionEE10hipError_tPvRmT1_T2_T3_mT4_P12ihipStream_tbEUlT_E1_NS1_11comp_targetILNS1_3genE0ELNS1_11target_archE4294967295ELNS1_3gpuE0ELNS1_3repE0EEENS1_30default_config_static_selectorELNS0_4arch9wavefront6targetE1EEEvSL_
	.globl	_ZN7rocprim17ROCPRIM_400000_NS6detail17trampoline_kernelINS0_14default_configENS1_22reduce_config_selectorI7point2dEEZNS1_11reduce_implILb1ES3_N6thrust23THRUST_200600_302600_NS6detail15normal_iteratorINS9_10device_ptrIS5_EEEEP4bboxSF_14bbox_reductionEE10hipError_tPvRmT1_T2_T3_mT4_P12ihipStream_tbEUlT_E1_NS1_11comp_targetILNS1_3genE0ELNS1_11target_archE4294967295ELNS1_3gpuE0ELNS1_3repE0EEENS1_30default_config_static_selectorELNS0_4arch9wavefront6targetE1EEEvSL_
	.p2align	8
	.type	_ZN7rocprim17ROCPRIM_400000_NS6detail17trampoline_kernelINS0_14default_configENS1_22reduce_config_selectorI7point2dEEZNS1_11reduce_implILb1ES3_N6thrust23THRUST_200600_302600_NS6detail15normal_iteratorINS9_10device_ptrIS5_EEEEP4bboxSF_14bbox_reductionEE10hipError_tPvRmT1_T2_T3_mT4_P12ihipStream_tbEUlT_E1_NS1_11comp_targetILNS1_3genE0ELNS1_11target_archE4294967295ELNS1_3gpuE0ELNS1_3repE0EEENS1_30default_config_static_selectorELNS0_4arch9wavefront6targetE1EEEvSL_,@function
_ZN7rocprim17ROCPRIM_400000_NS6detail17trampoline_kernelINS0_14default_configENS1_22reduce_config_selectorI7point2dEEZNS1_11reduce_implILb1ES3_N6thrust23THRUST_200600_302600_NS6detail15normal_iteratorINS9_10device_ptrIS5_EEEEP4bboxSF_14bbox_reductionEE10hipError_tPvRmT1_T2_T3_mT4_P12ihipStream_tbEUlT_E1_NS1_11comp_targetILNS1_3genE0ELNS1_11target_archE4294967295ELNS1_3gpuE0ELNS1_3repE0EEENS1_30default_config_static_selectorELNS0_4arch9wavefront6targetE1EEEvSL_: ; @_ZN7rocprim17ROCPRIM_400000_NS6detail17trampoline_kernelINS0_14default_configENS1_22reduce_config_selectorI7point2dEEZNS1_11reduce_implILb1ES3_N6thrust23THRUST_200600_302600_NS6detail15normal_iteratorINS9_10device_ptrIS5_EEEEP4bboxSF_14bbox_reductionEE10hipError_tPvRmT1_T2_T3_mT4_P12ihipStream_tbEUlT_E1_NS1_11comp_targetILNS1_3genE0ELNS1_11target_archE4294967295ELNS1_3gpuE0ELNS1_3repE0EEENS1_30default_config_static_selectorELNS0_4arch9wavefront6targetE1EEEvSL_
; %bb.0:
	.section	.rodata,"a",@progbits
	.p2align	6, 0x0
	.amdhsa_kernel _ZN7rocprim17ROCPRIM_400000_NS6detail17trampoline_kernelINS0_14default_configENS1_22reduce_config_selectorI7point2dEEZNS1_11reduce_implILb1ES3_N6thrust23THRUST_200600_302600_NS6detail15normal_iteratorINS9_10device_ptrIS5_EEEEP4bboxSF_14bbox_reductionEE10hipError_tPvRmT1_T2_T3_mT4_P12ihipStream_tbEUlT_E1_NS1_11comp_targetILNS1_3genE0ELNS1_11target_archE4294967295ELNS1_3gpuE0ELNS1_3repE0EEENS1_30default_config_static_selectorELNS0_4arch9wavefront6targetE1EEEvSL_
		.amdhsa_group_segment_fixed_size 0
		.amdhsa_private_segment_fixed_size 0
		.amdhsa_kernarg_size 56
		.amdhsa_user_sgpr_count 6
		.amdhsa_user_sgpr_private_segment_buffer 1
		.amdhsa_user_sgpr_dispatch_ptr 0
		.amdhsa_user_sgpr_queue_ptr 0
		.amdhsa_user_sgpr_kernarg_segment_ptr 1
		.amdhsa_user_sgpr_dispatch_id 0
		.amdhsa_user_sgpr_flat_scratch_init 0
		.amdhsa_user_sgpr_private_segment_size 0
		.amdhsa_uses_dynamic_stack 0
		.amdhsa_system_sgpr_private_segment_wavefront_offset 0
		.amdhsa_system_sgpr_workgroup_id_x 1
		.amdhsa_system_sgpr_workgroup_id_y 0
		.amdhsa_system_sgpr_workgroup_id_z 0
		.amdhsa_system_sgpr_workgroup_info 0
		.amdhsa_system_vgpr_workitem_id 0
		.amdhsa_next_free_vgpr 1
		.amdhsa_next_free_sgpr 0
		.amdhsa_reserve_vcc 0
		.amdhsa_reserve_flat_scratch 0
		.amdhsa_float_round_mode_32 0
		.amdhsa_float_round_mode_16_64 0
		.amdhsa_float_denorm_mode_32 3
		.amdhsa_float_denorm_mode_16_64 3
		.amdhsa_dx10_clamp 1
		.amdhsa_ieee_mode 1
		.amdhsa_fp16_overflow 0
		.amdhsa_exception_fp_ieee_invalid_op 0
		.amdhsa_exception_fp_denorm_src 0
		.amdhsa_exception_fp_ieee_div_zero 0
		.amdhsa_exception_fp_ieee_overflow 0
		.amdhsa_exception_fp_ieee_underflow 0
		.amdhsa_exception_fp_ieee_inexact 0
		.amdhsa_exception_int_div_zero 0
	.end_amdhsa_kernel
	.section	.text._ZN7rocprim17ROCPRIM_400000_NS6detail17trampoline_kernelINS0_14default_configENS1_22reduce_config_selectorI7point2dEEZNS1_11reduce_implILb1ES3_N6thrust23THRUST_200600_302600_NS6detail15normal_iteratorINS9_10device_ptrIS5_EEEEP4bboxSF_14bbox_reductionEE10hipError_tPvRmT1_T2_T3_mT4_P12ihipStream_tbEUlT_E1_NS1_11comp_targetILNS1_3genE0ELNS1_11target_archE4294967295ELNS1_3gpuE0ELNS1_3repE0EEENS1_30default_config_static_selectorELNS0_4arch9wavefront6targetE1EEEvSL_,"axG",@progbits,_ZN7rocprim17ROCPRIM_400000_NS6detail17trampoline_kernelINS0_14default_configENS1_22reduce_config_selectorI7point2dEEZNS1_11reduce_implILb1ES3_N6thrust23THRUST_200600_302600_NS6detail15normal_iteratorINS9_10device_ptrIS5_EEEEP4bboxSF_14bbox_reductionEE10hipError_tPvRmT1_T2_T3_mT4_P12ihipStream_tbEUlT_E1_NS1_11comp_targetILNS1_3genE0ELNS1_11target_archE4294967295ELNS1_3gpuE0ELNS1_3repE0EEENS1_30default_config_static_selectorELNS0_4arch9wavefront6targetE1EEEvSL_,comdat
.Lfunc_end29:
	.size	_ZN7rocprim17ROCPRIM_400000_NS6detail17trampoline_kernelINS0_14default_configENS1_22reduce_config_selectorI7point2dEEZNS1_11reduce_implILb1ES3_N6thrust23THRUST_200600_302600_NS6detail15normal_iteratorINS9_10device_ptrIS5_EEEEP4bboxSF_14bbox_reductionEE10hipError_tPvRmT1_T2_T3_mT4_P12ihipStream_tbEUlT_E1_NS1_11comp_targetILNS1_3genE0ELNS1_11target_archE4294967295ELNS1_3gpuE0ELNS1_3repE0EEENS1_30default_config_static_selectorELNS0_4arch9wavefront6targetE1EEEvSL_, .Lfunc_end29-_ZN7rocprim17ROCPRIM_400000_NS6detail17trampoline_kernelINS0_14default_configENS1_22reduce_config_selectorI7point2dEEZNS1_11reduce_implILb1ES3_N6thrust23THRUST_200600_302600_NS6detail15normal_iteratorINS9_10device_ptrIS5_EEEEP4bboxSF_14bbox_reductionEE10hipError_tPvRmT1_T2_T3_mT4_P12ihipStream_tbEUlT_E1_NS1_11comp_targetILNS1_3genE0ELNS1_11target_archE4294967295ELNS1_3gpuE0ELNS1_3repE0EEENS1_30default_config_static_selectorELNS0_4arch9wavefront6targetE1EEEvSL_
                                        ; -- End function
	.set _ZN7rocprim17ROCPRIM_400000_NS6detail17trampoline_kernelINS0_14default_configENS1_22reduce_config_selectorI7point2dEEZNS1_11reduce_implILb1ES3_N6thrust23THRUST_200600_302600_NS6detail15normal_iteratorINS9_10device_ptrIS5_EEEEP4bboxSF_14bbox_reductionEE10hipError_tPvRmT1_T2_T3_mT4_P12ihipStream_tbEUlT_E1_NS1_11comp_targetILNS1_3genE0ELNS1_11target_archE4294967295ELNS1_3gpuE0ELNS1_3repE0EEENS1_30default_config_static_selectorELNS0_4arch9wavefront6targetE1EEEvSL_.num_vgpr, 0
	.set _ZN7rocprim17ROCPRIM_400000_NS6detail17trampoline_kernelINS0_14default_configENS1_22reduce_config_selectorI7point2dEEZNS1_11reduce_implILb1ES3_N6thrust23THRUST_200600_302600_NS6detail15normal_iteratorINS9_10device_ptrIS5_EEEEP4bboxSF_14bbox_reductionEE10hipError_tPvRmT1_T2_T3_mT4_P12ihipStream_tbEUlT_E1_NS1_11comp_targetILNS1_3genE0ELNS1_11target_archE4294967295ELNS1_3gpuE0ELNS1_3repE0EEENS1_30default_config_static_selectorELNS0_4arch9wavefront6targetE1EEEvSL_.num_agpr, 0
	.set _ZN7rocprim17ROCPRIM_400000_NS6detail17trampoline_kernelINS0_14default_configENS1_22reduce_config_selectorI7point2dEEZNS1_11reduce_implILb1ES3_N6thrust23THRUST_200600_302600_NS6detail15normal_iteratorINS9_10device_ptrIS5_EEEEP4bboxSF_14bbox_reductionEE10hipError_tPvRmT1_T2_T3_mT4_P12ihipStream_tbEUlT_E1_NS1_11comp_targetILNS1_3genE0ELNS1_11target_archE4294967295ELNS1_3gpuE0ELNS1_3repE0EEENS1_30default_config_static_selectorELNS0_4arch9wavefront6targetE1EEEvSL_.numbered_sgpr, 0
	.set _ZN7rocprim17ROCPRIM_400000_NS6detail17trampoline_kernelINS0_14default_configENS1_22reduce_config_selectorI7point2dEEZNS1_11reduce_implILb1ES3_N6thrust23THRUST_200600_302600_NS6detail15normal_iteratorINS9_10device_ptrIS5_EEEEP4bboxSF_14bbox_reductionEE10hipError_tPvRmT1_T2_T3_mT4_P12ihipStream_tbEUlT_E1_NS1_11comp_targetILNS1_3genE0ELNS1_11target_archE4294967295ELNS1_3gpuE0ELNS1_3repE0EEENS1_30default_config_static_selectorELNS0_4arch9wavefront6targetE1EEEvSL_.num_named_barrier, 0
	.set _ZN7rocprim17ROCPRIM_400000_NS6detail17trampoline_kernelINS0_14default_configENS1_22reduce_config_selectorI7point2dEEZNS1_11reduce_implILb1ES3_N6thrust23THRUST_200600_302600_NS6detail15normal_iteratorINS9_10device_ptrIS5_EEEEP4bboxSF_14bbox_reductionEE10hipError_tPvRmT1_T2_T3_mT4_P12ihipStream_tbEUlT_E1_NS1_11comp_targetILNS1_3genE0ELNS1_11target_archE4294967295ELNS1_3gpuE0ELNS1_3repE0EEENS1_30default_config_static_selectorELNS0_4arch9wavefront6targetE1EEEvSL_.private_seg_size, 0
	.set _ZN7rocprim17ROCPRIM_400000_NS6detail17trampoline_kernelINS0_14default_configENS1_22reduce_config_selectorI7point2dEEZNS1_11reduce_implILb1ES3_N6thrust23THRUST_200600_302600_NS6detail15normal_iteratorINS9_10device_ptrIS5_EEEEP4bboxSF_14bbox_reductionEE10hipError_tPvRmT1_T2_T3_mT4_P12ihipStream_tbEUlT_E1_NS1_11comp_targetILNS1_3genE0ELNS1_11target_archE4294967295ELNS1_3gpuE0ELNS1_3repE0EEENS1_30default_config_static_selectorELNS0_4arch9wavefront6targetE1EEEvSL_.uses_vcc, 0
	.set _ZN7rocprim17ROCPRIM_400000_NS6detail17trampoline_kernelINS0_14default_configENS1_22reduce_config_selectorI7point2dEEZNS1_11reduce_implILb1ES3_N6thrust23THRUST_200600_302600_NS6detail15normal_iteratorINS9_10device_ptrIS5_EEEEP4bboxSF_14bbox_reductionEE10hipError_tPvRmT1_T2_T3_mT4_P12ihipStream_tbEUlT_E1_NS1_11comp_targetILNS1_3genE0ELNS1_11target_archE4294967295ELNS1_3gpuE0ELNS1_3repE0EEENS1_30default_config_static_selectorELNS0_4arch9wavefront6targetE1EEEvSL_.uses_flat_scratch, 0
	.set _ZN7rocprim17ROCPRIM_400000_NS6detail17trampoline_kernelINS0_14default_configENS1_22reduce_config_selectorI7point2dEEZNS1_11reduce_implILb1ES3_N6thrust23THRUST_200600_302600_NS6detail15normal_iteratorINS9_10device_ptrIS5_EEEEP4bboxSF_14bbox_reductionEE10hipError_tPvRmT1_T2_T3_mT4_P12ihipStream_tbEUlT_E1_NS1_11comp_targetILNS1_3genE0ELNS1_11target_archE4294967295ELNS1_3gpuE0ELNS1_3repE0EEENS1_30default_config_static_selectorELNS0_4arch9wavefront6targetE1EEEvSL_.has_dyn_sized_stack, 0
	.set _ZN7rocprim17ROCPRIM_400000_NS6detail17trampoline_kernelINS0_14default_configENS1_22reduce_config_selectorI7point2dEEZNS1_11reduce_implILb1ES3_N6thrust23THRUST_200600_302600_NS6detail15normal_iteratorINS9_10device_ptrIS5_EEEEP4bboxSF_14bbox_reductionEE10hipError_tPvRmT1_T2_T3_mT4_P12ihipStream_tbEUlT_E1_NS1_11comp_targetILNS1_3genE0ELNS1_11target_archE4294967295ELNS1_3gpuE0ELNS1_3repE0EEENS1_30default_config_static_selectorELNS0_4arch9wavefront6targetE1EEEvSL_.has_recursion, 0
	.set _ZN7rocprim17ROCPRIM_400000_NS6detail17trampoline_kernelINS0_14default_configENS1_22reduce_config_selectorI7point2dEEZNS1_11reduce_implILb1ES3_N6thrust23THRUST_200600_302600_NS6detail15normal_iteratorINS9_10device_ptrIS5_EEEEP4bboxSF_14bbox_reductionEE10hipError_tPvRmT1_T2_T3_mT4_P12ihipStream_tbEUlT_E1_NS1_11comp_targetILNS1_3genE0ELNS1_11target_archE4294967295ELNS1_3gpuE0ELNS1_3repE0EEENS1_30default_config_static_selectorELNS0_4arch9wavefront6targetE1EEEvSL_.has_indirect_call, 0
	.section	.AMDGPU.csdata,"",@progbits
; Kernel info:
; codeLenInByte = 0
; TotalNumSgprs: 4
; NumVgprs: 0
; ScratchSize: 0
; MemoryBound: 0
; FloatMode: 240
; IeeeMode: 1
; LDSByteSize: 0 bytes/workgroup (compile time only)
; SGPRBlocks: 0
; VGPRBlocks: 0
; NumSGPRsForWavesPerEU: 4
; NumVGPRsForWavesPerEU: 1
; Occupancy: 10
; WaveLimiterHint : 0
; COMPUTE_PGM_RSRC2:SCRATCH_EN: 0
; COMPUTE_PGM_RSRC2:USER_SGPR: 6
; COMPUTE_PGM_RSRC2:TRAP_HANDLER: 0
; COMPUTE_PGM_RSRC2:TGID_X_EN: 1
; COMPUTE_PGM_RSRC2:TGID_Y_EN: 0
; COMPUTE_PGM_RSRC2:TGID_Z_EN: 0
; COMPUTE_PGM_RSRC2:TIDIG_COMP_CNT: 0
	.section	.text._ZN7rocprim17ROCPRIM_400000_NS6detail17trampoline_kernelINS0_14default_configENS1_22reduce_config_selectorI7point2dEEZNS1_11reduce_implILb1ES3_N6thrust23THRUST_200600_302600_NS6detail15normal_iteratorINS9_10device_ptrIS5_EEEEP4bboxSF_14bbox_reductionEE10hipError_tPvRmT1_T2_T3_mT4_P12ihipStream_tbEUlT_E1_NS1_11comp_targetILNS1_3genE5ELNS1_11target_archE942ELNS1_3gpuE9ELNS1_3repE0EEENS1_30default_config_static_selectorELNS0_4arch9wavefront6targetE1EEEvSL_,"axG",@progbits,_ZN7rocprim17ROCPRIM_400000_NS6detail17trampoline_kernelINS0_14default_configENS1_22reduce_config_selectorI7point2dEEZNS1_11reduce_implILb1ES3_N6thrust23THRUST_200600_302600_NS6detail15normal_iteratorINS9_10device_ptrIS5_EEEEP4bboxSF_14bbox_reductionEE10hipError_tPvRmT1_T2_T3_mT4_P12ihipStream_tbEUlT_E1_NS1_11comp_targetILNS1_3genE5ELNS1_11target_archE942ELNS1_3gpuE9ELNS1_3repE0EEENS1_30default_config_static_selectorELNS0_4arch9wavefront6targetE1EEEvSL_,comdat
	.protected	_ZN7rocprim17ROCPRIM_400000_NS6detail17trampoline_kernelINS0_14default_configENS1_22reduce_config_selectorI7point2dEEZNS1_11reduce_implILb1ES3_N6thrust23THRUST_200600_302600_NS6detail15normal_iteratorINS9_10device_ptrIS5_EEEEP4bboxSF_14bbox_reductionEE10hipError_tPvRmT1_T2_T3_mT4_P12ihipStream_tbEUlT_E1_NS1_11comp_targetILNS1_3genE5ELNS1_11target_archE942ELNS1_3gpuE9ELNS1_3repE0EEENS1_30default_config_static_selectorELNS0_4arch9wavefront6targetE1EEEvSL_ ; -- Begin function _ZN7rocprim17ROCPRIM_400000_NS6detail17trampoline_kernelINS0_14default_configENS1_22reduce_config_selectorI7point2dEEZNS1_11reduce_implILb1ES3_N6thrust23THRUST_200600_302600_NS6detail15normal_iteratorINS9_10device_ptrIS5_EEEEP4bboxSF_14bbox_reductionEE10hipError_tPvRmT1_T2_T3_mT4_P12ihipStream_tbEUlT_E1_NS1_11comp_targetILNS1_3genE5ELNS1_11target_archE942ELNS1_3gpuE9ELNS1_3repE0EEENS1_30default_config_static_selectorELNS0_4arch9wavefront6targetE1EEEvSL_
	.globl	_ZN7rocprim17ROCPRIM_400000_NS6detail17trampoline_kernelINS0_14default_configENS1_22reduce_config_selectorI7point2dEEZNS1_11reduce_implILb1ES3_N6thrust23THRUST_200600_302600_NS6detail15normal_iteratorINS9_10device_ptrIS5_EEEEP4bboxSF_14bbox_reductionEE10hipError_tPvRmT1_T2_T3_mT4_P12ihipStream_tbEUlT_E1_NS1_11comp_targetILNS1_3genE5ELNS1_11target_archE942ELNS1_3gpuE9ELNS1_3repE0EEENS1_30default_config_static_selectorELNS0_4arch9wavefront6targetE1EEEvSL_
	.p2align	8
	.type	_ZN7rocprim17ROCPRIM_400000_NS6detail17trampoline_kernelINS0_14default_configENS1_22reduce_config_selectorI7point2dEEZNS1_11reduce_implILb1ES3_N6thrust23THRUST_200600_302600_NS6detail15normal_iteratorINS9_10device_ptrIS5_EEEEP4bboxSF_14bbox_reductionEE10hipError_tPvRmT1_T2_T3_mT4_P12ihipStream_tbEUlT_E1_NS1_11comp_targetILNS1_3genE5ELNS1_11target_archE942ELNS1_3gpuE9ELNS1_3repE0EEENS1_30default_config_static_selectorELNS0_4arch9wavefront6targetE1EEEvSL_,@function
_ZN7rocprim17ROCPRIM_400000_NS6detail17trampoline_kernelINS0_14default_configENS1_22reduce_config_selectorI7point2dEEZNS1_11reduce_implILb1ES3_N6thrust23THRUST_200600_302600_NS6detail15normal_iteratorINS9_10device_ptrIS5_EEEEP4bboxSF_14bbox_reductionEE10hipError_tPvRmT1_T2_T3_mT4_P12ihipStream_tbEUlT_E1_NS1_11comp_targetILNS1_3genE5ELNS1_11target_archE942ELNS1_3gpuE9ELNS1_3repE0EEENS1_30default_config_static_selectorELNS0_4arch9wavefront6targetE1EEEvSL_: ; @_ZN7rocprim17ROCPRIM_400000_NS6detail17trampoline_kernelINS0_14default_configENS1_22reduce_config_selectorI7point2dEEZNS1_11reduce_implILb1ES3_N6thrust23THRUST_200600_302600_NS6detail15normal_iteratorINS9_10device_ptrIS5_EEEEP4bboxSF_14bbox_reductionEE10hipError_tPvRmT1_T2_T3_mT4_P12ihipStream_tbEUlT_E1_NS1_11comp_targetILNS1_3genE5ELNS1_11target_archE942ELNS1_3gpuE9ELNS1_3repE0EEENS1_30default_config_static_selectorELNS0_4arch9wavefront6targetE1EEEvSL_
; %bb.0:
	.section	.rodata,"a",@progbits
	.p2align	6, 0x0
	.amdhsa_kernel _ZN7rocprim17ROCPRIM_400000_NS6detail17trampoline_kernelINS0_14default_configENS1_22reduce_config_selectorI7point2dEEZNS1_11reduce_implILb1ES3_N6thrust23THRUST_200600_302600_NS6detail15normal_iteratorINS9_10device_ptrIS5_EEEEP4bboxSF_14bbox_reductionEE10hipError_tPvRmT1_T2_T3_mT4_P12ihipStream_tbEUlT_E1_NS1_11comp_targetILNS1_3genE5ELNS1_11target_archE942ELNS1_3gpuE9ELNS1_3repE0EEENS1_30default_config_static_selectorELNS0_4arch9wavefront6targetE1EEEvSL_
		.amdhsa_group_segment_fixed_size 0
		.amdhsa_private_segment_fixed_size 0
		.amdhsa_kernarg_size 56
		.amdhsa_user_sgpr_count 6
		.amdhsa_user_sgpr_private_segment_buffer 1
		.amdhsa_user_sgpr_dispatch_ptr 0
		.amdhsa_user_sgpr_queue_ptr 0
		.amdhsa_user_sgpr_kernarg_segment_ptr 1
		.amdhsa_user_sgpr_dispatch_id 0
		.amdhsa_user_sgpr_flat_scratch_init 0
		.amdhsa_user_sgpr_private_segment_size 0
		.amdhsa_uses_dynamic_stack 0
		.amdhsa_system_sgpr_private_segment_wavefront_offset 0
		.amdhsa_system_sgpr_workgroup_id_x 1
		.amdhsa_system_sgpr_workgroup_id_y 0
		.amdhsa_system_sgpr_workgroup_id_z 0
		.amdhsa_system_sgpr_workgroup_info 0
		.amdhsa_system_vgpr_workitem_id 0
		.amdhsa_next_free_vgpr 1
		.amdhsa_next_free_sgpr 0
		.amdhsa_reserve_vcc 0
		.amdhsa_reserve_flat_scratch 0
		.amdhsa_float_round_mode_32 0
		.amdhsa_float_round_mode_16_64 0
		.amdhsa_float_denorm_mode_32 3
		.amdhsa_float_denorm_mode_16_64 3
		.amdhsa_dx10_clamp 1
		.amdhsa_ieee_mode 1
		.amdhsa_fp16_overflow 0
		.amdhsa_exception_fp_ieee_invalid_op 0
		.amdhsa_exception_fp_denorm_src 0
		.amdhsa_exception_fp_ieee_div_zero 0
		.amdhsa_exception_fp_ieee_overflow 0
		.amdhsa_exception_fp_ieee_underflow 0
		.amdhsa_exception_fp_ieee_inexact 0
		.amdhsa_exception_int_div_zero 0
	.end_amdhsa_kernel
	.section	.text._ZN7rocprim17ROCPRIM_400000_NS6detail17trampoline_kernelINS0_14default_configENS1_22reduce_config_selectorI7point2dEEZNS1_11reduce_implILb1ES3_N6thrust23THRUST_200600_302600_NS6detail15normal_iteratorINS9_10device_ptrIS5_EEEEP4bboxSF_14bbox_reductionEE10hipError_tPvRmT1_T2_T3_mT4_P12ihipStream_tbEUlT_E1_NS1_11comp_targetILNS1_3genE5ELNS1_11target_archE942ELNS1_3gpuE9ELNS1_3repE0EEENS1_30default_config_static_selectorELNS0_4arch9wavefront6targetE1EEEvSL_,"axG",@progbits,_ZN7rocprim17ROCPRIM_400000_NS6detail17trampoline_kernelINS0_14default_configENS1_22reduce_config_selectorI7point2dEEZNS1_11reduce_implILb1ES3_N6thrust23THRUST_200600_302600_NS6detail15normal_iteratorINS9_10device_ptrIS5_EEEEP4bboxSF_14bbox_reductionEE10hipError_tPvRmT1_T2_T3_mT4_P12ihipStream_tbEUlT_E1_NS1_11comp_targetILNS1_3genE5ELNS1_11target_archE942ELNS1_3gpuE9ELNS1_3repE0EEENS1_30default_config_static_selectorELNS0_4arch9wavefront6targetE1EEEvSL_,comdat
.Lfunc_end30:
	.size	_ZN7rocprim17ROCPRIM_400000_NS6detail17trampoline_kernelINS0_14default_configENS1_22reduce_config_selectorI7point2dEEZNS1_11reduce_implILb1ES3_N6thrust23THRUST_200600_302600_NS6detail15normal_iteratorINS9_10device_ptrIS5_EEEEP4bboxSF_14bbox_reductionEE10hipError_tPvRmT1_T2_T3_mT4_P12ihipStream_tbEUlT_E1_NS1_11comp_targetILNS1_3genE5ELNS1_11target_archE942ELNS1_3gpuE9ELNS1_3repE0EEENS1_30default_config_static_selectorELNS0_4arch9wavefront6targetE1EEEvSL_, .Lfunc_end30-_ZN7rocprim17ROCPRIM_400000_NS6detail17trampoline_kernelINS0_14default_configENS1_22reduce_config_selectorI7point2dEEZNS1_11reduce_implILb1ES3_N6thrust23THRUST_200600_302600_NS6detail15normal_iteratorINS9_10device_ptrIS5_EEEEP4bboxSF_14bbox_reductionEE10hipError_tPvRmT1_T2_T3_mT4_P12ihipStream_tbEUlT_E1_NS1_11comp_targetILNS1_3genE5ELNS1_11target_archE942ELNS1_3gpuE9ELNS1_3repE0EEENS1_30default_config_static_selectorELNS0_4arch9wavefront6targetE1EEEvSL_
                                        ; -- End function
	.set _ZN7rocprim17ROCPRIM_400000_NS6detail17trampoline_kernelINS0_14default_configENS1_22reduce_config_selectorI7point2dEEZNS1_11reduce_implILb1ES3_N6thrust23THRUST_200600_302600_NS6detail15normal_iteratorINS9_10device_ptrIS5_EEEEP4bboxSF_14bbox_reductionEE10hipError_tPvRmT1_T2_T3_mT4_P12ihipStream_tbEUlT_E1_NS1_11comp_targetILNS1_3genE5ELNS1_11target_archE942ELNS1_3gpuE9ELNS1_3repE0EEENS1_30default_config_static_selectorELNS0_4arch9wavefront6targetE1EEEvSL_.num_vgpr, 0
	.set _ZN7rocprim17ROCPRIM_400000_NS6detail17trampoline_kernelINS0_14default_configENS1_22reduce_config_selectorI7point2dEEZNS1_11reduce_implILb1ES3_N6thrust23THRUST_200600_302600_NS6detail15normal_iteratorINS9_10device_ptrIS5_EEEEP4bboxSF_14bbox_reductionEE10hipError_tPvRmT1_T2_T3_mT4_P12ihipStream_tbEUlT_E1_NS1_11comp_targetILNS1_3genE5ELNS1_11target_archE942ELNS1_3gpuE9ELNS1_3repE0EEENS1_30default_config_static_selectorELNS0_4arch9wavefront6targetE1EEEvSL_.num_agpr, 0
	.set _ZN7rocprim17ROCPRIM_400000_NS6detail17trampoline_kernelINS0_14default_configENS1_22reduce_config_selectorI7point2dEEZNS1_11reduce_implILb1ES3_N6thrust23THRUST_200600_302600_NS6detail15normal_iteratorINS9_10device_ptrIS5_EEEEP4bboxSF_14bbox_reductionEE10hipError_tPvRmT1_T2_T3_mT4_P12ihipStream_tbEUlT_E1_NS1_11comp_targetILNS1_3genE5ELNS1_11target_archE942ELNS1_3gpuE9ELNS1_3repE0EEENS1_30default_config_static_selectorELNS0_4arch9wavefront6targetE1EEEvSL_.numbered_sgpr, 0
	.set _ZN7rocprim17ROCPRIM_400000_NS6detail17trampoline_kernelINS0_14default_configENS1_22reduce_config_selectorI7point2dEEZNS1_11reduce_implILb1ES3_N6thrust23THRUST_200600_302600_NS6detail15normal_iteratorINS9_10device_ptrIS5_EEEEP4bboxSF_14bbox_reductionEE10hipError_tPvRmT1_T2_T3_mT4_P12ihipStream_tbEUlT_E1_NS1_11comp_targetILNS1_3genE5ELNS1_11target_archE942ELNS1_3gpuE9ELNS1_3repE0EEENS1_30default_config_static_selectorELNS0_4arch9wavefront6targetE1EEEvSL_.num_named_barrier, 0
	.set _ZN7rocprim17ROCPRIM_400000_NS6detail17trampoline_kernelINS0_14default_configENS1_22reduce_config_selectorI7point2dEEZNS1_11reduce_implILb1ES3_N6thrust23THRUST_200600_302600_NS6detail15normal_iteratorINS9_10device_ptrIS5_EEEEP4bboxSF_14bbox_reductionEE10hipError_tPvRmT1_T2_T3_mT4_P12ihipStream_tbEUlT_E1_NS1_11comp_targetILNS1_3genE5ELNS1_11target_archE942ELNS1_3gpuE9ELNS1_3repE0EEENS1_30default_config_static_selectorELNS0_4arch9wavefront6targetE1EEEvSL_.private_seg_size, 0
	.set _ZN7rocprim17ROCPRIM_400000_NS6detail17trampoline_kernelINS0_14default_configENS1_22reduce_config_selectorI7point2dEEZNS1_11reduce_implILb1ES3_N6thrust23THRUST_200600_302600_NS6detail15normal_iteratorINS9_10device_ptrIS5_EEEEP4bboxSF_14bbox_reductionEE10hipError_tPvRmT1_T2_T3_mT4_P12ihipStream_tbEUlT_E1_NS1_11comp_targetILNS1_3genE5ELNS1_11target_archE942ELNS1_3gpuE9ELNS1_3repE0EEENS1_30default_config_static_selectorELNS0_4arch9wavefront6targetE1EEEvSL_.uses_vcc, 0
	.set _ZN7rocprim17ROCPRIM_400000_NS6detail17trampoline_kernelINS0_14default_configENS1_22reduce_config_selectorI7point2dEEZNS1_11reduce_implILb1ES3_N6thrust23THRUST_200600_302600_NS6detail15normal_iteratorINS9_10device_ptrIS5_EEEEP4bboxSF_14bbox_reductionEE10hipError_tPvRmT1_T2_T3_mT4_P12ihipStream_tbEUlT_E1_NS1_11comp_targetILNS1_3genE5ELNS1_11target_archE942ELNS1_3gpuE9ELNS1_3repE0EEENS1_30default_config_static_selectorELNS0_4arch9wavefront6targetE1EEEvSL_.uses_flat_scratch, 0
	.set _ZN7rocprim17ROCPRIM_400000_NS6detail17trampoline_kernelINS0_14default_configENS1_22reduce_config_selectorI7point2dEEZNS1_11reduce_implILb1ES3_N6thrust23THRUST_200600_302600_NS6detail15normal_iteratorINS9_10device_ptrIS5_EEEEP4bboxSF_14bbox_reductionEE10hipError_tPvRmT1_T2_T3_mT4_P12ihipStream_tbEUlT_E1_NS1_11comp_targetILNS1_3genE5ELNS1_11target_archE942ELNS1_3gpuE9ELNS1_3repE0EEENS1_30default_config_static_selectorELNS0_4arch9wavefront6targetE1EEEvSL_.has_dyn_sized_stack, 0
	.set _ZN7rocprim17ROCPRIM_400000_NS6detail17trampoline_kernelINS0_14default_configENS1_22reduce_config_selectorI7point2dEEZNS1_11reduce_implILb1ES3_N6thrust23THRUST_200600_302600_NS6detail15normal_iteratorINS9_10device_ptrIS5_EEEEP4bboxSF_14bbox_reductionEE10hipError_tPvRmT1_T2_T3_mT4_P12ihipStream_tbEUlT_E1_NS1_11comp_targetILNS1_3genE5ELNS1_11target_archE942ELNS1_3gpuE9ELNS1_3repE0EEENS1_30default_config_static_selectorELNS0_4arch9wavefront6targetE1EEEvSL_.has_recursion, 0
	.set _ZN7rocprim17ROCPRIM_400000_NS6detail17trampoline_kernelINS0_14default_configENS1_22reduce_config_selectorI7point2dEEZNS1_11reduce_implILb1ES3_N6thrust23THRUST_200600_302600_NS6detail15normal_iteratorINS9_10device_ptrIS5_EEEEP4bboxSF_14bbox_reductionEE10hipError_tPvRmT1_T2_T3_mT4_P12ihipStream_tbEUlT_E1_NS1_11comp_targetILNS1_3genE5ELNS1_11target_archE942ELNS1_3gpuE9ELNS1_3repE0EEENS1_30default_config_static_selectorELNS0_4arch9wavefront6targetE1EEEvSL_.has_indirect_call, 0
	.section	.AMDGPU.csdata,"",@progbits
; Kernel info:
; codeLenInByte = 0
; TotalNumSgprs: 4
; NumVgprs: 0
; ScratchSize: 0
; MemoryBound: 0
; FloatMode: 240
; IeeeMode: 1
; LDSByteSize: 0 bytes/workgroup (compile time only)
; SGPRBlocks: 0
; VGPRBlocks: 0
; NumSGPRsForWavesPerEU: 4
; NumVGPRsForWavesPerEU: 1
; Occupancy: 10
; WaveLimiterHint : 0
; COMPUTE_PGM_RSRC2:SCRATCH_EN: 0
; COMPUTE_PGM_RSRC2:USER_SGPR: 6
; COMPUTE_PGM_RSRC2:TRAP_HANDLER: 0
; COMPUTE_PGM_RSRC2:TGID_X_EN: 1
; COMPUTE_PGM_RSRC2:TGID_Y_EN: 0
; COMPUTE_PGM_RSRC2:TGID_Z_EN: 0
; COMPUTE_PGM_RSRC2:TIDIG_COMP_CNT: 0
	.section	.text._ZN7rocprim17ROCPRIM_400000_NS6detail17trampoline_kernelINS0_14default_configENS1_22reduce_config_selectorI7point2dEEZNS1_11reduce_implILb1ES3_N6thrust23THRUST_200600_302600_NS6detail15normal_iteratorINS9_10device_ptrIS5_EEEEP4bboxSF_14bbox_reductionEE10hipError_tPvRmT1_T2_T3_mT4_P12ihipStream_tbEUlT_E1_NS1_11comp_targetILNS1_3genE4ELNS1_11target_archE910ELNS1_3gpuE8ELNS1_3repE0EEENS1_30default_config_static_selectorELNS0_4arch9wavefront6targetE1EEEvSL_,"axG",@progbits,_ZN7rocprim17ROCPRIM_400000_NS6detail17trampoline_kernelINS0_14default_configENS1_22reduce_config_selectorI7point2dEEZNS1_11reduce_implILb1ES3_N6thrust23THRUST_200600_302600_NS6detail15normal_iteratorINS9_10device_ptrIS5_EEEEP4bboxSF_14bbox_reductionEE10hipError_tPvRmT1_T2_T3_mT4_P12ihipStream_tbEUlT_E1_NS1_11comp_targetILNS1_3genE4ELNS1_11target_archE910ELNS1_3gpuE8ELNS1_3repE0EEENS1_30default_config_static_selectorELNS0_4arch9wavefront6targetE1EEEvSL_,comdat
	.protected	_ZN7rocprim17ROCPRIM_400000_NS6detail17trampoline_kernelINS0_14default_configENS1_22reduce_config_selectorI7point2dEEZNS1_11reduce_implILb1ES3_N6thrust23THRUST_200600_302600_NS6detail15normal_iteratorINS9_10device_ptrIS5_EEEEP4bboxSF_14bbox_reductionEE10hipError_tPvRmT1_T2_T3_mT4_P12ihipStream_tbEUlT_E1_NS1_11comp_targetILNS1_3genE4ELNS1_11target_archE910ELNS1_3gpuE8ELNS1_3repE0EEENS1_30default_config_static_selectorELNS0_4arch9wavefront6targetE1EEEvSL_ ; -- Begin function _ZN7rocprim17ROCPRIM_400000_NS6detail17trampoline_kernelINS0_14default_configENS1_22reduce_config_selectorI7point2dEEZNS1_11reduce_implILb1ES3_N6thrust23THRUST_200600_302600_NS6detail15normal_iteratorINS9_10device_ptrIS5_EEEEP4bboxSF_14bbox_reductionEE10hipError_tPvRmT1_T2_T3_mT4_P12ihipStream_tbEUlT_E1_NS1_11comp_targetILNS1_3genE4ELNS1_11target_archE910ELNS1_3gpuE8ELNS1_3repE0EEENS1_30default_config_static_selectorELNS0_4arch9wavefront6targetE1EEEvSL_
	.globl	_ZN7rocprim17ROCPRIM_400000_NS6detail17trampoline_kernelINS0_14default_configENS1_22reduce_config_selectorI7point2dEEZNS1_11reduce_implILb1ES3_N6thrust23THRUST_200600_302600_NS6detail15normal_iteratorINS9_10device_ptrIS5_EEEEP4bboxSF_14bbox_reductionEE10hipError_tPvRmT1_T2_T3_mT4_P12ihipStream_tbEUlT_E1_NS1_11comp_targetILNS1_3genE4ELNS1_11target_archE910ELNS1_3gpuE8ELNS1_3repE0EEENS1_30default_config_static_selectorELNS0_4arch9wavefront6targetE1EEEvSL_
	.p2align	8
	.type	_ZN7rocprim17ROCPRIM_400000_NS6detail17trampoline_kernelINS0_14default_configENS1_22reduce_config_selectorI7point2dEEZNS1_11reduce_implILb1ES3_N6thrust23THRUST_200600_302600_NS6detail15normal_iteratorINS9_10device_ptrIS5_EEEEP4bboxSF_14bbox_reductionEE10hipError_tPvRmT1_T2_T3_mT4_P12ihipStream_tbEUlT_E1_NS1_11comp_targetILNS1_3genE4ELNS1_11target_archE910ELNS1_3gpuE8ELNS1_3repE0EEENS1_30default_config_static_selectorELNS0_4arch9wavefront6targetE1EEEvSL_,@function
_ZN7rocprim17ROCPRIM_400000_NS6detail17trampoline_kernelINS0_14default_configENS1_22reduce_config_selectorI7point2dEEZNS1_11reduce_implILb1ES3_N6thrust23THRUST_200600_302600_NS6detail15normal_iteratorINS9_10device_ptrIS5_EEEEP4bboxSF_14bbox_reductionEE10hipError_tPvRmT1_T2_T3_mT4_P12ihipStream_tbEUlT_E1_NS1_11comp_targetILNS1_3genE4ELNS1_11target_archE910ELNS1_3gpuE8ELNS1_3repE0EEENS1_30default_config_static_selectorELNS0_4arch9wavefront6targetE1EEEvSL_: ; @_ZN7rocprim17ROCPRIM_400000_NS6detail17trampoline_kernelINS0_14default_configENS1_22reduce_config_selectorI7point2dEEZNS1_11reduce_implILb1ES3_N6thrust23THRUST_200600_302600_NS6detail15normal_iteratorINS9_10device_ptrIS5_EEEEP4bboxSF_14bbox_reductionEE10hipError_tPvRmT1_T2_T3_mT4_P12ihipStream_tbEUlT_E1_NS1_11comp_targetILNS1_3genE4ELNS1_11target_archE910ELNS1_3gpuE8ELNS1_3repE0EEENS1_30default_config_static_selectorELNS0_4arch9wavefront6targetE1EEEvSL_
; %bb.0:
	.section	.rodata,"a",@progbits
	.p2align	6, 0x0
	.amdhsa_kernel _ZN7rocprim17ROCPRIM_400000_NS6detail17trampoline_kernelINS0_14default_configENS1_22reduce_config_selectorI7point2dEEZNS1_11reduce_implILb1ES3_N6thrust23THRUST_200600_302600_NS6detail15normal_iteratorINS9_10device_ptrIS5_EEEEP4bboxSF_14bbox_reductionEE10hipError_tPvRmT1_T2_T3_mT4_P12ihipStream_tbEUlT_E1_NS1_11comp_targetILNS1_3genE4ELNS1_11target_archE910ELNS1_3gpuE8ELNS1_3repE0EEENS1_30default_config_static_selectorELNS0_4arch9wavefront6targetE1EEEvSL_
		.amdhsa_group_segment_fixed_size 0
		.amdhsa_private_segment_fixed_size 0
		.amdhsa_kernarg_size 56
		.amdhsa_user_sgpr_count 6
		.amdhsa_user_sgpr_private_segment_buffer 1
		.amdhsa_user_sgpr_dispatch_ptr 0
		.amdhsa_user_sgpr_queue_ptr 0
		.amdhsa_user_sgpr_kernarg_segment_ptr 1
		.amdhsa_user_sgpr_dispatch_id 0
		.amdhsa_user_sgpr_flat_scratch_init 0
		.amdhsa_user_sgpr_private_segment_size 0
		.amdhsa_uses_dynamic_stack 0
		.amdhsa_system_sgpr_private_segment_wavefront_offset 0
		.amdhsa_system_sgpr_workgroup_id_x 1
		.amdhsa_system_sgpr_workgroup_id_y 0
		.amdhsa_system_sgpr_workgroup_id_z 0
		.amdhsa_system_sgpr_workgroup_info 0
		.amdhsa_system_vgpr_workitem_id 0
		.amdhsa_next_free_vgpr 1
		.amdhsa_next_free_sgpr 0
		.amdhsa_reserve_vcc 0
		.amdhsa_reserve_flat_scratch 0
		.amdhsa_float_round_mode_32 0
		.amdhsa_float_round_mode_16_64 0
		.amdhsa_float_denorm_mode_32 3
		.amdhsa_float_denorm_mode_16_64 3
		.amdhsa_dx10_clamp 1
		.amdhsa_ieee_mode 1
		.amdhsa_fp16_overflow 0
		.amdhsa_exception_fp_ieee_invalid_op 0
		.amdhsa_exception_fp_denorm_src 0
		.amdhsa_exception_fp_ieee_div_zero 0
		.amdhsa_exception_fp_ieee_overflow 0
		.amdhsa_exception_fp_ieee_underflow 0
		.amdhsa_exception_fp_ieee_inexact 0
		.amdhsa_exception_int_div_zero 0
	.end_amdhsa_kernel
	.section	.text._ZN7rocprim17ROCPRIM_400000_NS6detail17trampoline_kernelINS0_14default_configENS1_22reduce_config_selectorI7point2dEEZNS1_11reduce_implILb1ES3_N6thrust23THRUST_200600_302600_NS6detail15normal_iteratorINS9_10device_ptrIS5_EEEEP4bboxSF_14bbox_reductionEE10hipError_tPvRmT1_T2_T3_mT4_P12ihipStream_tbEUlT_E1_NS1_11comp_targetILNS1_3genE4ELNS1_11target_archE910ELNS1_3gpuE8ELNS1_3repE0EEENS1_30default_config_static_selectorELNS0_4arch9wavefront6targetE1EEEvSL_,"axG",@progbits,_ZN7rocprim17ROCPRIM_400000_NS6detail17trampoline_kernelINS0_14default_configENS1_22reduce_config_selectorI7point2dEEZNS1_11reduce_implILb1ES3_N6thrust23THRUST_200600_302600_NS6detail15normal_iteratorINS9_10device_ptrIS5_EEEEP4bboxSF_14bbox_reductionEE10hipError_tPvRmT1_T2_T3_mT4_P12ihipStream_tbEUlT_E1_NS1_11comp_targetILNS1_3genE4ELNS1_11target_archE910ELNS1_3gpuE8ELNS1_3repE0EEENS1_30default_config_static_selectorELNS0_4arch9wavefront6targetE1EEEvSL_,comdat
.Lfunc_end31:
	.size	_ZN7rocprim17ROCPRIM_400000_NS6detail17trampoline_kernelINS0_14default_configENS1_22reduce_config_selectorI7point2dEEZNS1_11reduce_implILb1ES3_N6thrust23THRUST_200600_302600_NS6detail15normal_iteratorINS9_10device_ptrIS5_EEEEP4bboxSF_14bbox_reductionEE10hipError_tPvRmT1_T2_T3_mT4_P12ihipStream_tbEUlT_E1_NS1_11comp_targetILNS1_3genE4ELNS1_11target_archE910ELNS1_3gpuE8ELNS1_3repE0EEENS1_30default_config_static_selectorELNS0_4arch9wavefront6targetE1EEEvSL_, .Lfunc_end31-_ZN7rocprim17ROCPRIM_400000_NS6detail17trampoline_kernelINS0_14default_configENS1_22reduce_config_selectorI7point2dEEZNS1_11reduce_implILb1ES3_N6thrust23THRUST_200600_302600_NS6detail15normal_iteratorINS9_10device_ptrIS5_EEEEP4bboxSF_14bbox_reductionEE10hipError_tPvRmT1_T2_T3_mT4_P12ihipStream_tbEUlT_E1_NS1_11comp_targetILNS1_3genE4ELNS1_11target_archE910ELNS1_3gpuE8ELNS1_3repE0EEENS1_30default_config_static_selectorELNS0_4arch9wavefront6targetE1EEEvSL_
                                        ; -- End function
	.set _ZN7rocprim17ROCPRIM_400000_NS6detail17trampoline_kernelINS0_14default_configENS1_22reduce_config_selectorI7point2dEEZNS1_11reduce_implILb1ES3_N6thrust23THRUST_200600_302600_NS6detail15normal_iteratorINS9_10device_ptrIS5_EEEEP4bboxSF_14bbox_reductionEE10hipError_tPvRmT1_T2_T3_mT4_P12ihipStream_tbEUlT_E1_NS1_11comp_targetILNS1_3genE4ELNS1_11target_archE910ELNS1_3gpuE8ELNS1_3repE0EEENS1_30default_config_static_selectorELNS0_4arch9wavefront6targetE1EEEvSL_.num_vgpr, 0
	.set _ZN7rocprim17ROCPRIM_400000_NS6detail17trampoline_kernelINS0_14default_configENS1_22reduce_config_selectorI7point2dEEZNS1_11reduce_implILb1ES3_N6thrust23THRUST_200600_302600_NS6detail15normal_iteratorINS9_10device_ptrIS5_EEEEP4bboxSF_14bbox_reductionEE10hipError_tPvRmT1_T2_T3_mT4_P12ihipStream_tbEUlT_E1_NS1_11comp_targetILNS1_3genE4ELNS1_11target_archE910ELNS1_3gpuE8ELNS1_3repE0EEENS1_30default_config_static_selectorELNS0_4arch9wavefront6targetE1EEEvSL_.num_agpr, 0
	.set _ZN7rocprim17ROCPRIM_400000_NS6detail17trampoline_kernelINS0_14default_configENS1_22reduce_config_selectorI7point2dEEZNS1_11reduce_implILb1ES3_N6thrust23THRUST_200600_302600_NS6detail15normal_iteratorINS9_10device_ptrIS5_EEEEP4bboxSF_14bbox_reductionEE10hipError_tPvRmT1_T2_T3_mT4_P12ihipStream_tbEUlT_E1_NS1_11comp_targetILNS1_3genE4ELNS1_11target_archE910ELNS1_3gpuE8ELNS1_3repE0EEENS1_30default_config_static_selectorELNS0_4arch9wavefront6targetE1EEEvSL_.numbered_sgpr, 0
	.set _ZN7rocprim17ROCPRIM_400000_NS6detail17trampoline_kernelINS0_14default_configENS1_22reduce_config_selectorI7point2dEEZNS1_11reduce_implILb1ES3_N6thrust23THRUST_200600_302600_NS6detail15normal_iteratorINS9_10device_ptrIS5_EEEEP4bboxSF_14bbox_reductionEE10hipError_tPvRmT1_T2_T3_mT4_P12ihipStream_tbEUlT_E1_NS1_11comp_targetILNS1_3genE4ELNS1_11target_archE910ELNS1_3gpuE8ELNS1_3repE0EEENS1_30default_config_static_selectorELNS0_4arch9wavefront6targetE1EEEvSL_.num_named_barrier, 0
	.set _ZN7rocprim17ROCPRIM_400000_NS6detail17trampoline_kernelINS0_14default_configENS1_22reduce_config_selectorI7point2dEEZNS1_11reduce_implILb1ES3_N6thrust23THRUST_200600_302600_NS6detail15normal_iteratorINS9_10device_ptrIS5_EEEEP4bboxSF_14bbox_reductionEE10hipError_tPvRmT1_T2_T3_mT4_P12ihipStream_tbEUlT_E1_NS1_11comp_targetILNS1_3genE4ELNS1_11target_archE910ELNS1_3gpuE8ELNS1_3repE0EEENS1_30default_config_static_selectorELNS0_4arch9wavefront6targetE1EEEvSL_.private_seg_size, 0
	.set _ZN7rocprim17ROCPRIM_400000_NS6detail17trampoline_kernelINS0_14default_configENS1_22reduce_config_selectorI7point2dEEZNS1_11reduce_implILb1ES3_N6thrust23THRUST_200600_302600_NS6detail15normal_iteratorINS9_10device_ptrIS5_EEEEP4bboxSF_14bbox_reductionEE10hipError_tPvRmT1_T2_T3_mT4_P12ihipStream_tbEUlT_E1_NS1_11comp_targetILNS1_3genE4ELNS1_11target_archE910ELNS1_3gpuE8ELNS1_3repE0EEENS1_30default_config_static_selectorELNS0_4arch9wavefront6targetE1EEEvSL_.uses_vcc, 0
	.set _ZN7rocprim17ROCPRIM_400000_NS6detail17trampoline_kernelINS0_14default_configENS1_22reduce_config_selectorI7point2dEEZNS1_11reduce_implILb1ES3_N6thrust23THRUST_200600_302600_NS6detail15normal_iteratorINS9_10device_ptrIS5_EEEEP4bboxSF_14bbox_reductionEE10hipError_tPvRmT1_T2_T3_mT4_P12ihipStream_tbEUlT_E1_NS1_11comp_targetILNS1_3genE4ELNS1_11target_archE910ELNS1_3gpuE8ELNS1_3repE0EEENS1_30default_config_static_selectorELNS0_4arch9wavefront6targetE1EEEvSL_.uses_flat_scratch, 0
	.set _ZN7rocprim17ROCPRIM_400000_NS6detail17trampoline_kernelINS0_14default_configENS1_22reduce_config_selectorI7point2dEEZNS1_11reduce_implILb1ES3_N6thrust23THRUST_200600_302600_NS6detail15normal_iteratorINS9_10device_ptrIS5_EEEEP4bboxSF_14bbox_reductionEE10hipError_tPvRmT1_T2_T3_mT4_P12ihipStream_tbEUlT_E1_NS1_11comp_targetILNS1_3genE4ELNS1_11target_archE910ELNS1_3gpuE8ELNS1_3repE0EEENS1_30default_config_static_selectorELNS0_4arch9wavefront6targetE1EEEvSL_.has_dyn_sized_stack, 0
	.set _ZN7rocprim17ROCPRIM_400000_NS6detail17trampoline_kernelINS0_14default_configENS1_22reduce_config_selectorI7point2dEEZNS1_11reduce_implILb1ES3_N6thrust23THRUST_200600_302600_NS6detail15normal_iteratorINS9_10device_ptrIS5_EEEEP4bboxSF_14bbox_reductionEE10hipError_tPvRmT1_T2_T3_mT4_P12ihipStream_tbEUlT_E1_NS1_11comp_targetILNS1_3genE4ELNS1_11target_archE910ELNS1_3gpuE8ELNS1_3repE0EEENS1_30default_config_static_selectorELNS0_4arch9wavefront6targetE1EEEvSL_.has_recursion, 0
	.set _ZN7rocprim17ROCPRIM_400000_NS6detail17trampoline_kernelINS0_14default_configENS1_22reduce_config_selectorI7point2dEEZNS1_11reduce_implILb1ES3_N6thrust23THRUST_200600_302600_NS6detail15normal_iteratorINS9_10device_ptrIS5_EEEEP4bboxSF_14bbox_reductionEE10hipError_tPvRmT1_T2_T3_mT4_P12ihipStream_tbEUlT_E1_NS1_11comp_targetILNS1_3genE4ELNS1_11target_archE910ELNS1_3gpuE8ELNS1_3repE0EEENS1_30default_config_static_selectorELNS0_4arch9wavefront6targetE1EEEvSL_.has_indirect_call, 0
	.section	.AMDGPU.csdata,"",@progbits
; Kernel info:
; codeLenInByte = 0
; TotalNumSgprs: 4
; NumVgprs: 0
; ScratchSize: 0
; MemoryBound: 0
; FloatMode: 240
; IeeeMode: 1
; LDSByteSize: 0 bytes/workgroup (compile time only)
; SGPRBlocks: 0
; VGPRBlocks: 0
; NumSGPRsForWavesPerEU: 4
; NumVGPRsForWavesPerEU: 1
; Occupancy: 10
; WaveLimiterHint : 0
; COMPUTE_PGM_RSRC2:SCRATCH_EN: 0
; COMPUTE_PGM_RSRC2:USER_SGPR: 6
; COMPUTE_PGM_RSRC2:TRAP_HANDLER: 0
; COMPUTE_PGM_RSRC2:TGID_X_EN: 1
; COMPUTE_PGM_RSRC2:TGID_Y_EN: 0
; COMPUTE_PGM_RSRC2:TGID_Z_EN: 0
; COMPUTE_PGM_RSRC2:TIDIG_COMP_CNT: 0
	.section	.text._ZN7rocprim17ROCPRIM_400000_NS6detail17trampoline_kernelINS0_14default_configENS1_22reduce_config_selectorI7point2dEEZNS1_11reduce_implILb1ES3_N6thrust23THRUST_200600_302600_NS6detail15normal_iteratorINS9_10device_ptrIS5_EEEEP4bboxSF_14bbox_reductionEE10hipError_tPvRmT1_T2_T3_mT4_P12ihipStream_tbEUlT_E1_NS1_11comp_targetILNS1_3genE3ELNS1_11target_archE908ELNS1_3gpuE7ELNS1_3repE0EEENS1_30default_config_static_selectorELNS0_4arch9wavefront6targetE1EEEvSL_,"axG",@progbits,_ZN7rocprim17ROCPRIM_400000_NS6detail17trampoline_kernelINS0_14default_configENS1_22reduce_config_selectorI7point2dEEZNS1_11reduce_implILb1ES3_N6thrust23THRUST_200600_302600_NS6detail15normal_iteratorINS9_10device_ptrIS5_EEEEP4bboxSF_14bbox_reductionEE10hipError_tPvRmT1_T2_T3_mT4_P12ihipStream_tbEUlT_E1_NS1_11comp_targetILNS1_3genE3ELNS1_11target_archE908ELNS1_3gpuE7ELNS1_3repE0EEENS1_30default_config_static_selectorELNS0_4arch9wavefront6targetE1EEEvSL_,comdat
	.protected	_ZN7rocprim17ROCPRIM_400000_NS6detail17trampoline_kernelINS0_14default_configENS1_22reduce_config_selectorI7point2dEEZNS1_11reduce_implILb1ES3_N6thrust23THRUST_200600_302600_NS6detail15normal_iteratorINS9_10device_ptrIS5_EEEEP4bboxSF_14bbox_reductionEE10hipError_tPvRmT1_T2_T3_mT4_P12ihipStream_tbEUlT_E1_NS1_11comp_targetILNS1_3genE3ELNS1_11target_archE908ELNS1_3gpuE7ELNS1_3repE0EEENS1_30default_config_static_selectorELNS0_4arch9wavefront6targetE1EEEvSL_ ; -- Begin function _ZN7rocprim17ROCPRIM_400000_NS6detail17trampoline_kernelINS0_14default_configENS1_22reduce_config_selectorI7point2dEEZNS1_11reduce_implILb1ES3_N6thrust23THRUST_200600_302600_NS6detail15normal_iteratorINS9_10device_ptrIS5_EEEEP4bboxSF_14bbox_reductionEE10hipError_tPvRmT1_T2_T3_mT4_P12ihipStream_tbEUlT_E1_NS1_11comp_targetILNS1_3genE3ELNS1_11target_archE908ELNS1_3gpuE7ELNS1_3repE0EEENS1_30default_config_static_selectorELNS0_4arch9wavefront6targetE1EEEvSL_
	.globl	_ZN7rocprim17ROCPRIM_400000_NS6detail17trampoline_kernelINS0_14default_configENS1_22reduce_config_selectorI7point2dEEZNS1_11reduce_implILb1ES3_N6thrust23THRUST_200600_302600_NS6detail15normal_iteratorINS9_10device_ptrIS5_EEEEP4bboxSF_14bbox_reductionEE10hipError_tPvRmT1_T2_T3_mT4_P12ihipStream_tbEUlT_E1_NS1_11comp_targetILNS1_3genE3ELNS1_11target_archE908ELNS1_3gpuE7ELNS1_3repE0EEENS1_30default_config_static_selectorELNS0_4arch9wavefront6targetE1EEEvSL_
	.p2align	8
	.type	_ZN7rocprim17ROCPRIM_400000_NS6detail17trampoline_kernelINS0_14default_configENS1_22reduce_config_selectorI7point2dEEZNS1_11reduce_implILb1ES3_N6thrust23THRUST_200600_302600_NS6detail15normal_iteratorINS9_10device_ptrIS5_EEEEP4bboxSF_14bbox_reductionEE10hipError_tPvRmT1_T2_T3_mT4_P12ihipStream_tbEUlT_E1_NS1_11comp_targetILNS1_3genE3ELNS1_11target_archE908ELNS1_3gpuE7ELNS1_3repE0EEENS1_30default_config_static_selectorELNS0_4arch9wavefront6targetE1EEEvSL_,@function
_ZN7rocprim17ROCPRIM_400000_NS6detail17trampoline_kernelINS0_14default_configENS1_22reduce_config_selectorI7point2dEEZNS1_11reduce_implILb1ES3_N6thrust23THRUST_200600_302600_NS6detail15normal_iteratorINS9_10device_ptrIS5_EEEEP4bboxSF_14bbox_reductionEE10hipError_tPvRmT1_T2_T3_mT4_P12ihipStream_tbEUlT_E1_NS1_11comp_targetILNS1_3genE3ELNS1_11target_archE908ELNS1_3gpuE7ELNS1_3repE0EEENS1_30default_config_static_selectorELNS0_4arch9wavefront6targetE1EEEvSL_: ; @_ZN7rocprim17ROCPRIM_400000_NS6detail17trampoline_kernelINS0_14default_configENS1_22reduce_config_selectorI7point2dEEZNS1_11reduce_implILb1ES3_N6thrust23THRUST_200600_302600_NS6detail15normal_iteratorINS9_10device_ptrIS5_EEEEP4bboxSF_14bbox_reductionEE10hipError_tPvRmT1_T2_T3_mT4_P12ihipStream_tbEUlT_E1_NS1_11comp_targetILNS1_3genE3ELNS1_11target_archE908ELNS1_3gpuE7ELNS1_3repE0EEENS1_30default_config_static_selectorELNS0_4arch9wavefront6targetE1EEEvSL_
; %bb.0:
	.section	.rodata,"a",@progbits
	.p2align	6, 0x0
	.amdhsa_kernel _ZN7rocprim17ROCPRIM_400000_NS6detail17trampoline_kernelINS0_14default_configENS1_22reduce_config_selectorI7point2dEEZNS1_11reduce_implILb1ES3_N6thrust23THRUST_200600_302600_NS6detail15normal_iteratorINS9_10device_ptrIS5_EEEEP4bboxSF_14bbox_reductionEE10hipError_tPvRmT1_T2_T3_mT4_P12ihipStream_tbEUlT_E1_NS1_11comp_targetILNS1_3genE3ELNS1_11target_archE908ELNS1_3gpuE7ELNS1_3repE0EEENS1_30default_config_static_selectorELNS0_4arch9wavefront6targetE1EEEvSL_
		.amdhsa_group_segment_fixed_size 0
		.amdhsa_private_segment_fixed_size 0
		.amdhsa_kernarg_size 56
		.amdhsa_user_sgpr_count 6
		.amdhsa_user_sgpr_private_segment_buffer 1
		.amdhsa_user_sgpr_dispatch_ptr 0
		.amdhsa_user_sgpr_queue_ptr 0
		.amdhsa_user_sgpr_kernarg_segment_ptr 1
		.amdhsa_user_sgpr_dispatch_id 0
		.amdhsa_user_sgpr_flat_scratch_init 0
		.amdhsa_user_sgpr_private_segment_size 0
		.amdhsa_uses_dynamic_stack 0
		.amdhsa_system_sgpr_private_segment_wavefront_offset 0
		.amdhsa_system_sgpr_workgroup_id_x 1
		.amdhsa_system_sgpr_workgroup_id_y 0
		.amdhsa_system_sgpr_workgroup_id_z 0
		.amdhsa_system_sgpr_workgroup_info 0
		.amdhsa_system_vgpr_workitem_id 0
		.amdhsa_next_free_vgpr 1
		.amdhsa_next_free_sgpr 0
		.amdhsa_reserve_vcc 0
		.amdhsa_reserve_flat_scratch 0
		.amdhsa_float_round_mode_32 0
		.amdhsa_float_round_mode_16_64 0
		.amdhsa_float_denorm_mode_32 3
		.amdhsa_float_denorm_mode_16_64 3
		.amdhsa_dx10_clamp 1
		.amdhsa_ieee_mode 1
		.amdhsa_fp16_overflow 0
		.amdhsa_exception_fp_ieee_invalid_op 0
		.amdhsa_exception_fp_denorm_src 0
		.amdhsa_exception_fp_ieee_div_zero 0
		.amdhsa_exception_fp_ieee_overflow 0
		.amdhsa_exception_fp_ieee_underflow 0
		.amdhsa_exception_fp_ieee_inexact 0
		.amdhsa_exception_int_div_zero 0
	.end_amdhsa_kernel
	.section	.text._ZN7rocprim17ROCPRIM_400000_NS6detail17trampoline_kernelINS0_14default_configENS1_22reduce_config_selectorI7point2dEEZNS1_11reduce_implILb1ES3_N6thrust23THRUST_200600_302600_NS6detail15normal_iteratorINS9_10device_ptrIS5_EEEEP4bboxSF_14bbox_reductionEE10hipError_tPvRmT1_T2_T3_mT4_P12ihipStream_tbEUlT_E1_NS1_11comp_targetILNS1_3genE3ELNS1_11target_archE908ELNS1_3gpuE7ELNS1_3repE0EEENS1_30default_config_static_selectorELNS0_4arch9wavefront6targetE1EEEvSL_,"axG",@progbits,_ZN7rocprim17ROCPRIM_400000_NS6detail17trampoline_kernelINS0_14default_configENS1_22reduce_config_selectorI7point2dEEZNS1_11reduce_implILb1ES3_N6thrust23THRUST_200600_302600_NS6detail15normal_iteratorINS9_10device_ptrIS5_EEEEP4bboxSF_14bbox_reductionEE10hipError_tPvRmT1_T2_T3_mT4_P12ihipStream_tbEUlT_E1_NS1_11comp_targetILNS1_3genE3ELNS1_11target_archE908ELNS1_3gpuE7ELNS1_3repE0EEENS1_30default_config_static_selectorELNS0_4arch9wavefront6targetE1EEEvSL_,comdat
.Lfunc_end32:
	.size	_ZN7rocprim17ROCPRIM_400000_NS6detail17trampoline_kernelINS0_14default_configENS1_22reduce_config_selectorI7point2dEEZNS1_11reduce_implILb1ES3_N6thrust23THRUST_200600_302600_NS6detail15normal_iteratorINS9_10device_ptrIS5_EEEEP4bboxSF_14bbox_reductionEE10hipError_tPvRmT1_T2_T3_mT4_P12ihipStream_tbEUlT_E1_NS1_11comp_targetILNS1_3genE3ELNS1_11target_archE908ELNS1_3gpuE7ELNS1_3repE0EEENS1_30default_config_static_selectorELNS0_4arch9wavefront6targetE1EEEvSL_, .Lfunc_end32-_ZN7rocprim17ROCPRIM_400000_NS6detail17trampoline_kernelINS0_14default_configENS1_22reduce_config_selectorI7point2dEEZNS1_11reduce_implILb1ES3_N6thrust23THRUST_200600_302600_NS6detail15normal_iteratorINS9_10device_ptrIS5_EEEEP4bboxSF_14bbox_reductionEE10hipError_tPvRmT1_T2_T3_mT4_P12ihipStream_tbEUlT_E1_NS1_11comp_targetILNS1_3genE3ELNS1_11target_archE908ELNS1_3gpuE7ELNS1_3repE0EEENS1_30default_config_static_selectorELNS0_4arch9wavefront6targetE1EEEvSL_
                                        ; -- End function
	.set _ZN7rocprim17ROCPRIM_400000_NS6detail17trampoline_kernelINS0_14default_configENS1_22reduce_config_selectorI7point2dEEZNS1_11reduce_implILb1ES3_N6thrust23THRUST_200600_302600_NS6detail15normal_iteratorINS9_10device_ptrIS5_EEEEP4bboxSF_14bbox_reductionEE10hipError_tPvRmT1_T2_T3_mT4_P12ihipStream_tbEUlT_E1_NS1_11comp_targetILNS1_3genE3ELNS1_11target_archE908ELNS1_3gpuE7ELNS1_3repE0EEENS1_30default_config_static_selectorELNS0_4arch9wavefront6targetE1EEEvSL_.num_vgpr, 0
	.set _ZN7rocprim17ROCPRIM_400000_NS6detail17trampoline_kernelINS0_14default_configENS1_22reduce_config_selectorI7point2dEEZNS1_11reduce_implILb1ES3_N6thrust23THRUST_200600_302600_NS6detail15normal_iteratorINS9_10device_ptrIS5_EEEEP4bboxSF_14bbox_reductionEE10hipError_tPvRmT1_T2_T3_mT4_P12ihipStream_tbEUlT_E1_NS1_11comp_targetILNS1_3genE3ELNS1_11target_archE908ELNS1_3gpuE7ELNS1_3repE0EEENS1_30default_config_static_selectorELNS0_4arch9wavefront6targetE1EEEvSL_.num_agpr, 0
	.set _ZN7rocprim17ROCPRIM_400000_NS6detail17trampoline_kernelINS0_14default_configENS1_22reduce_config_selectorI7point2dEEZNS1_11reduce_implILb1ES3_N6thrust23THRUST_200600_302600_NS6detail15normal_iteratorINS9_10device_ptrIS5_EEEEP4bboxSF_14bbox_reductionEE10hipError_tPvRmT1_T2_T3_mT4_P12ihipStream_tbEUlT_E1_NS1_11comp_targetILNS1_3genE3ELNS1_11target_archE908ELNS1_3gpuE7ELNS1_3repE0EEENS1_30default_config_static_selectorELNS0_4arch9wavefront6targetE1EEEvSL_.numbered_sgpr, 0
	.set _ZN7rocprim17ROCPRIM_400000_NS6detail17trampoline_kernelINS0_14default_configENS1_22reduce_config_selectorI7point2dEEZNS1_11reduce_implILb1ES3_N6thrust23THRUST_200600_302600_NS6detail15normal_iteratorINS9_10device_ptrIS5_EEEEP4bboxSF_14bbox_reductionEE10hipError_tPvRmT1_T2_T3_mT4_P12ihipStream_tbEUlT_E1_NS1_11comp_targetILNS1_3genE3ELNS1_11target_archE908ELNS1_3gpuE7ELNS1_3repE0EEENS1_30default_config_static_selectorELNS0_4arch9wavefront6targetE1EEEvSL_.num_named_barrier, 0
	.set _ZN7rocprim17ROCPRIM_400000_NS6detail17trampoline_kernelINS0_14default_configENS1_22reduce_config_selectorI7point2dEEZNS1_11reduce_implILb1ES3_N6thrust23THRUST_200600_302600_NS6detail15normal_iteratorINS9_10device_ptrIS5_EEEEP4bboxSF_14bbox_reductionEE10hipError_tPvRmT1_T2_T3_mT4_P12ihipStream_tbEUlT_E1_NS1_11comp_targetILNS1_3genE3ELNS1_11target_archE908ELNS1_3gpuE7ELNS1_3repE0EEENS1_30default_config_static_selectorELNS0_4arch9wavefront6targetE1EEEvSL_.private_seg_size, 0
	.set _ZN7rocprim17ROCPRIM_400000_NS6detail17trampoline_kernelINS0_14default_configENS1_22reduce_config_selectorI7point2dEEZNS1_11reduce_implILb1ES3_N6thrust23THRUST_200600_302600_NS6detail15normal_iteratorINS9_10device_ptrIS5_EEEEP4bboxSF_14bbox_reductionEE10hipError_tPvRmT1_T2_T3_mT4_P12ihipStream_tbEUlT_E1_NS1_11comp_targetILNS1_3genE3ELNS1_11target_archE908ELNS1_3gpuE7ELNS1_3repE0EEENS1_30default_config_static_selectorELNS0_4arch9wavefront6targetE1EEEvSL_.uses_vcc, 0
	.set _ZN7rocprim17ROCPRIM_400000_NS6detail17trampoline_kernelINS0_14default_configENS1_22reduce_config_selectorI7point2dEEZNS1_11reduce_implILb1ES3_N6thrust23THRUST_200600_302600_NS6detail15normal_iteratorINS9_10device_ptrIS5_EEEEP4bboxSF_14bbox_reductionEE10hipError_tPvRmT1_T2_T3_mT4_P12ihipStream_tbEUlT_E1_NS1_11comp_targetILNS1_3genE3ELNS1_11target_archE908ELNS1_3gpuE7ELNS1_3repE0EEENS1_30default_config_static_selectorELNS0_4arch9wavefront6targetE1EEEvSL_.uses_flat_scratch, 0
	.set _ZN7rocprim17ROCPRIM_400000_NS6detail17trampoline_kernelINS0_14default_configENS1_22reduce_config_selectorI7point2dEEZNS1_11reduce_implILb1ES3_N6thrust23THRUST_200600_302600_NS6detail15normal_iteratorINS9_10device_ptrIS5_EEEEP4bboxSF_14bbox_reductionEE10hipError_tPvRmT1_T2_T3_mT4_P12ihipStream_tbEUlT_E1_NS1_11comp_targetILNS1_3genE3ELNS1_11target_archE908ELNS1_3gpuE7ELNS1_3repE0EEENS1_30default_config_static_selectorELNS0_4arch9wavefront6targetE1EEEvSL_.has_dyn_sized_stack, 0
	.set _ZN7rocprim17ROCPRIM_400000_NS6detail17trampoline_kernelINS0_14default_configENS1_22reduce_config_selectorI7point2dEEZNS1_11reduce_implILb1ES3_N6thrust23THRUST_200600_302600_NS6detail15normal_iteratorINS9_10device_ptrIS5_EEEEP4bboxSF_14bbox_reductionEE10hipError_tPvRmT1_T2_T3_mT4_P12ihipStream_tbEUlT_E1_NS1_11comp_targetILNS1_3genE3ELNS1_11target_archE908ELNS1_3gpuE7ELNS1_3repE0EEENS1_30default_config_static_selectorELNS0_4arch9wavefront6targetE1EEEvSL_.has_recursion, 0
	.set _ZN7rocprim17ROCPRIM_400000_NS6detail17trampoline_kernelINS0_14default_configENS1_22reduce_config_selectorI7point2dEEZNS1_11reduce_implILb1ES3_N6thrust23THRUST_200600_302600_NS6detail15normal_iteratorINS9_10device_ptrIS5_EEEEP4bboxSF_14bbox_reductionEE10hipError_tPvRmT1_T2_T3_mT4_P12ihipStream_tbEUlT_E1_NS1_11comp_targetILNS1_3genE3ELNS1_11target_archE908ELNS1_3gpuE7ELNS1_3repE0EEENS1_30default_config_static_selectorELNS0_4arch9wavefront6targetE1EEEvSL_.has_indirect_call, 0
	.section	.AMDGPU.csdata,"",@progbits
; Kernel info:
; codeLenInByte = 0
; TotalNumSgprs: 4
; NumVgprs: 0
; ScratchSize: 0
; MemoryBound: 0
; FloatMode: 240
; IeeeMode: 1
; LDSByteSize: 0 bytes/workgroup (compile time only)
; SGPRBlocks: 0
; VGPRBlocks: 0
; NumSGPRsForWavesPerEU: 4
; NumVGPRsForWavesPerEU: 1
; Occupancy: 10
; WaveLimiterHint : 0
; COMPUTE_PGM_RSRC2:SCRATCH_EN: 0
; COMPUTE_PGM_RSRC2:USER_SGPR: 6
; COMPUTE_PGM_RSRC2:TRAP_HANDLER: 0
; COMPUTE_PGM_RSRC2:TGID_X_EN: 1
; COMPUTE_PGM_RSRC2:TGID_Y_EN: 0
; COMPUTE_PGM_RSRC2:TGID_Z_EN: 0
; COMPUTE_PGM_RSRC2:TIDIG_COMP_CNT: 0
	.section	.text._ZN7rocprim17ROCPRIM_400000_NS6detail17trampoline_kernelINS0_14default_configENS1_22reduce_config_selectorI7point2dEEZNS1_11reduce_implILb1ES3_N6thrust23THRUST_200600_302600_NS6detail15normal_iteratorINS9_10device_ptrIS5_EEEEP4bboxSF_14bbox_reductionEE10hipError_tPvRmT1_T2_T3_mT4_P12ihipStream_tbEUlT_E1_NS1_11comp_targetILNS1_3genE2ELNS1_11target_archE906ELNS1_3gpuE6ELNS1_3repE0EEENS1_30default_config_static_selectorELNS0_4arch9wavefront6targetE1EEEvSL_,"axG",@progbits,_ZN7rocprim17ROCPRIM_400000_NS6detail17trampoline_kernelINS0_14default_configENS1_22reduce_config_selectorI7point2dEEZNS1_11reduce_implILb1ES3_N6thrust23THRUST_200600_302600_NS6detail15normal_iteratorINS9_10device_ptrIS5_EEEEP4bboxSF_14bbox_reductionEE10hipError_tPvRmT1_T2_T3_mT4_P12ihipStream_tbEUlT_E1_NS1_11comp_targetILNS1_3genE2ELNS1_11target_archE906ELNS1_3gpuE6ELNS1_3repE0EEENS1_30default_config_static_selectorELNS0_4arch9wavefront6targetE1EEEvSL_,comdat
	.protected	_ZN7rocprim17ROCPRIM_400000_NS6detail17trampoline_kernelINS0_14default_configENS1_22reduce_config_selectorI7point2dEEZNS1_11reduce_implILb1ES3_N6thrust23THRUST_200600_302600_NS6detail15normal_iteratorINS9_10device_ptrIS5_EEEEP4bboxSF_14bbox_reductionEE10hipError_tPvRmT1_T2_T3_mT4_P12ihipStream_tbEUlT_E1_NS1_11comp_targetILNS1_3genE2ELNS1_11target_archE906ELNS1_3gpuE6ELNS1_3repE0EEENS1_30default_config_static_selectorELNS0_4arch9wavefront6targetE1EEEvSL_ ; -- Begin function _ZN7rocprim17ROCPRIM_400000_NS6detail17trampoline_kernelINS0_14default_configENS1_22reduce_config_selectorI7point2dEEZNS1_11reduce_implILb1ES3_N6thrust23THRUST_200600_302600_NS6detail15normal_iteratorINS9_10device_ptrIS5_EEEEP4bboxSF_14bbox_reductionEE10hipError_tPvRmT1_T2_T3_mT4_P12ihipStream_tbEUlT_E1_NS1_11comp_targetILNS1_3genE2ELNS1_11target_archE906ELNS1_3gpuE6ELNS1_3repE0EEENS1_30default_config_static_selectorELNS0_4arch9wavefront6targetE1EEEvSL_
	.globl	_ZN7rocprim17ROCPRIM_400000_NS6detail17trampoline_kernelINS0_14default_configENS1_22reduce_config_selectorI7point2dEEZNS1_11reduce_implILb1ES3_N6thrust23THRUST_200600_302600_NS6detail15normal_iteratorINS9_10device_ptrIS5_EEEEP4bboxSF_14bbox_reductionEE10hipError_tPvRmT1_T2_T3_mT4_P12ihipStream_tbEUlT_E1_NS1_11comp_targetILNS1_3genE2ELNS1_11target_archE906ELNS1_3gpuE6ELNS1_3repE0EEENS1_30default_config_static_selectorELNS0_4arch9wavefront6targetE1EEEvSL_
	.p2align	8
	.type	_ZN7rocprim17ROCPRIM_400000_NS6detail17trampoline_kernelINS0_14default_configENS1_22reduce_config_selectorI7point2dEEZNS1_11reduce_implILb1ES3_N6thrust23THRUST_200600_302600_NS6detail15normal_iteratorINS9_10device_ptrIS5_EEEEP4bboxSF_14bbox_reductionEE10hipError_tPvRmT1_T2_T3_mT4_P12ihipStream_tbEUlT_E1_NS1_11comp_targetILNS1_3genE2ELNS1_11target_archE906ELNS1_3gpuE6ELNS1_3repE0EEENS1_30default_config_static_selectorELNS0_4arch9wavefront6targetE1EEEvSL_,@function
_ZN7rocprim17ROCPRIM_400000_NS6detail17trampoline_kernelINS0_14default_configENS1_22reduce_config_selectorI7point2dEEZNS1_11reduce_implILb1ES3_N6thrust23THRUST_200600_302600_NS6detail15normal_iteratorINS9_10device_ptrIS5_EEEEP4bboxSF_14bbox_reductionEE10hipError_tPvRmT1_T2_T3_mT4_P12ihipStream_tbEUlT_E1_NS1_11comp_targetILNS1_3genE2ELNS1_11target_archE906ELNS1_3gpuE6ELNS1_3repE0EEENS1_30default_config_static_selectorELNS0_4arch9wavefront6targetE1EEEvSL_: ; @_ZN7rocprim17ROCPRIM_400000_NS6detail17trampoline_kernelINS0_14default_configENS1_22reduce_config_selectorI7point2dEEZNS1_11reduce_implILb1ES3_N6thrust23THRUST_200600_302600_NS6detail15normal_iteratorINS9_10device_ptrIS5_EEEEP4bboxSF_14bbox_reductionEE10hipError_tPvRmT1_T2_T3_mT4_P12ihipStream_tbEUlT_E1_NS1_11comp_targetILNS1_3genE2ELNS1_11target_archE906ELNS1_3gpuE6ELNS1_3repE0EEENS1_30default_config_static_selectorELNS0_4arch9wavefront6targetE1EEEvSL_
; %bb.0:
	s_load_dword s33, s[4:5], 0x4
	s_load_dwordx4 s[40:43], s[4:5], 0x8
	s_load_dwordx4 s[36:39], s[4:5], 0x20
	s_waitcnt lgkmcnt(0)
	s_cmp_lt_i32 s33, 4
	s_cbranch_scc1 .LBB33_10
; %bb.1:
	s_cmp_gt_i32 s33, 7
	s_cbranch_scc0 .LBB33_11
; %bb.2:
	s_cmp_gt_i32 s33, 15
	s_cbranch_scc0 .LBB33_12
; %bb.3:
	s_cmp_eq_u32 s33, 16
	s_mov_b64 s[34:35], 0
	s_cbranch_scc0 .LBB33_13
; %bb.4:
	s_mov_b32 s7, 0
	s_lshl_b32 s0, s6, 12
	s_mov_b32 s1, s7
	s_lshr_b64 s[2:3], s[42:43], 12
	s_lshl_b64 s[8:9], s[0:1], 3
	s_add_u32 s44, s40, s8
	s_addc_u32 s45, s41, s9
	s_cmp_lg_u64 s[2:3], s[6:7]
	s_cbranch_scc0 .LBB33_22
; %bb.5:
	v_lshlrev_b32_e32 v5, 3, v0
	global_load_dwordx2 v[1:2], v5, s[44:45]
	global_load_dwordx2 v[3:4], v5, s[44:45] offset:2048
	v_mov_b32_e32 v6, s45
	v_add_co_u32_e32 v29, vcc, s44, v5
	v_addc_co_u32_e32 v30, vcc, 0, v6, vcc
	v_add_co_u32_e32 v5, vcc, 0x1000, v29
	v_addc_co_u32_e32 v6, vcc, 0, v30, vcc
	global_load_dwordx2 v[7:8], v[5:6], off
	global_load_dwordx2 v[9:10], v[5:6], off offset:2048
	v_add_co_u32_e32 v5, vcc, 0x2000, v29
	v_addc_co_u32_e32 v6, vcc, 0, v30, vcc
	global_load_dwordx2 v[11:12], v[5:6], off
	global_load_dwordx2 v[13:14], v[5:6], off offset:2048
	;; [unrolled: 4-line block ×3, first 2 shown]
	v_add_co_u32_e32 v5, vcc, 0x4000, v29
	v_addc_co_u32_e32 v6, vcc, 0, v30, vcc
	global_load_dwordx2 v[19:20], v[5:6], off
	v_add_co_u32_e32 v21, vcc, 0x5000, v29
	global_load_dwordx2 v[5:6], v[5:6], off offset:2048
	v_addc_co_u32_e32 v22, vcc, 0, v30, vcc
	global_load_dwordx2 v[25:26], v[21:22], off
	global_load_dwordx2 v[27:28], v[21:22], off offset:2048
	v_add_co_u32_e32 v23, vcc, 0x6000, v29
	v_addc_co_u32_e32 v24, vcc, 0, v30, vcc
	s_waitcnt vmcnt(10)
	v_cmp_lt_f32_e32 vcc, v3, v1
	v_cndmask_b32_e32 v21, v1, v3, vcc
	v_cmp_lt_f32_e32 vcc, v4, v2
	v_cndmask_b32_e32 v22, v2, v4, vcc
	;; [unrolled: 2-line block ×4, first 2 shown]
	v_add_co_u32_e32 v1, vcc, 0x7000, v29
	global_load_dwordx2 v[3:4], v[23:24], off
	v_addc_co_u32_e32 v2, vcc, 0, v30, vcc
	s_waitcnt vmcnt(10)
	v_cmp_lt_f32_e32 vcc, v7, v21
	v_cndmask_b32_e32 v33, v21, v7, vcc
	v_cmp_lt_f32_e32 vcc, v8, v22
	v_cndmask_b32_e32 v34, v22, v8, vcc
	;; [unrolled: 2-line block ×4, first 2 shown]
	global_load_dwordx2 v[7:8], v[23:24], off offset:2048
	global_load_dwordx2 v[21:22], v[1:2], off
	global_load_dwordx2 v[29:30], v[1:2], off offset:2048
	s_waitcnt vmcnt(12)
	v_cmp_lt_f32_e32 vcc, v9, v33
	v_cndmask_b32_e32 v1, v33, v9, vcc
	v_cmp_lt_f32_e32 vcc, v10, v34
	v_cndmask_b32_e32 v2, v34, v10, vcc
	v_cmp_lt_f32_e32 vcc, v31, v9
	v_cndmask_b32_e32 v9, v31, v9, vcc
	v_cmp_lt_f32_e32 vcc, v32, v10
	v_cndmask_b32_e32 v10, v32, v10, vcc
	s_waitcnt vmcnt(11)
	v_cmp_lt_f32_e32 vcc, v11, v1
	v_cndmask_b32_e32 v1, v1, v11, vcc
	v_cmp_lt_f32_e32 vcc, v12, v2
	v_cndmask_b32_e32 v2, v2, v12, vcc
	v_cmp_lt_f32_e32 vcc, v9, v11
	v_cndmask_b32_e32 v9, v9, v11, vcc
	v_cmp_lt_f32_e32 vcc, v10, v12
	v_cndmask_b32_e32 v10, v10, v12, vcc
	;; [unrolled: 9-line block ×12, first 2 shown]
	s_waitcnt vmcnt(0)
	v_cmp_lt_f32_e32 vcc, v29, v1
	v_cndmask_b32_e32 v1, v1, v29, vcc
	v_cmp_lt_f32_e32 vcc, v30, v2
	v_cndmask_b32_e32 v2, v2, v30, vcc
	;; [unrolled: 2-line block ×3, first 2 shown]
	v_cmp_lt_f32_e32 vcc, v4, v30
	v_mov_b32_dpp v6, v1 quad_perm:[1,0,3,2] row_mask:0xf bank_mask:0xf bound_ctrl:1
	v_cndmask_b32_e32 v4, v4, v30, vcc
	v_mov_b32_dpp v7, v2 quad_perm:[1,0,3,2] row_mask:0xf bank_mask:0xf bound_ctrl:1
	v_cmp_lt_f32_e32 vcc, v1, v6
	v_mov_b32_dpp v8, v3 quad_perm:[1,0,3,2] row_mask:0xf bank_mask:0xf bound_ctrl:1
	v_cndmask_b32_e32 v1, v6, v1, vcc
	v_cmp_lt_f32_e32 vcc, v2, v7
	v_mov_b32_dpp v9, v4 quad_perm:[1,0,3,2] row_mask:0xf bank_mask:0xf bound_ctrl:1
	v_cndmask_b32_e32 v2, v7, v2, vcc
	v_cmp_gt_f32_e32 vcc, v3, v8
	v_cndmask_b32_e32 v3, v8, v3, vcc
	v_cmp_gt_f32_e32 vcc, v4, v9
	v_mov_b32_dpp v6, v1 quad_perm:[2,3,0,1] row_mask:0xf bank_mask:0xf bound_ctrl:1
	v_cndmask_b32_e32 v4, v9, v4, vcc
	v_mov_b32_dpp v7, v2 quad_perm:[2,3,0,1] row_mask:0xf bank_mask:0xf bound_ctrl:1
	v_cmp_lt_f32_e32 vcc, v1, v6
	v_mov_b32_dpp v8, v3 quad_perm:[2,3,0,1] row_mask:0xf bank_mask:0xf bound_ctrl:1
	v_cndmask_b32_e32 v1, v6, v1, vcc
	v_cmp_lt_f32_e32 vcc, v2, v7
	v_mov_b32_dpp v9, v4 quad_perm:[2,3,0,1] row_mask:0xf bank_mask:0xf bound_ctrl:1
	v_cndmask_b32_e32 v2, v7, v2, vcc
	v_cmp_gt_f32_e32 vcc, v3, v8
	v_cndmask_b32_e32 v3, v8, v3, vcc
	v_cmp_gt_f32_e32 vcc, v4, v9
	v_mov_b32_dpp v6, v1 row_ror:4 row_mask:0xf bank_mask:0xf bound_ctrl:1
	v_cndmask_b32_e32 v4, v9, v4, vcc
	v_mov_b32_dpp v7, v2 row_ror:4 row_mask:0xf bank_mask:0xf bound_ctrl:1
	v_cmp_lt_f32_e32 vcc, v1, v6
	v_mov_b32_dpp v8, v3 row_ror:4 row_mask:0xf bank_mask:0xf bound_ctrl:1
	v_cndmask_b32_e32 v1, v6, v1, vcc
	v_cmp_lt_f32_e32 vcc, v2, v7
	v_mov_b32_dpp v9, v4 row_ror:4 row_mask:0xf bank_mask:0xf bound_ctrl:1
	v_cndmask_b32_e32 v2, v7, v2, vcc
	v_cmp_gt_f32_e32 vcc, v3, v8
	v_cndmask_b32_e32 v3, v8, v3, vcc
	v_cmp_gt_f32_e32 vcc, v4, v9
	v_mov_b32_dpp v6, v1 row_ror:8 row_mask:0xf bank_mask:0xf bound_ctrl:1
	v_cndmask_b32_e32 v4, v9, v4, vcc
	v_mov_b32_dpp v7, v2 row_ror:8 row_mask:0xf bank_mask:0xf bound_ctrl:1
	v_cmp_lt_f32_e32 vcc, v1, v6
	v_mov_b32_dpp v8, v3 row_ror:8 row_mask:0xf bank_mask:0xf bound_ctrl:1
	v_cndmask_b32_e32 v1, v6, v1, vcc
	v_cmp_lt_f32_e32 vcc, v2, v7
	v_mov_b32_dpp v9, v4 row_ror:8 row_mask:0xf bank_mask:0xf bound_ctrl:1
	v_cndmask_b32_e32 v2, v7, v2, vcc
	v_cmp_gt_f32_e32 vcc, v3, v8
	v_cndmask_b32_e32 v3, v8, v3, vcc
	v_cmp_gt_f32_e32 vcc, v4, v9
	v_mov_b32_dpp v6, v1 row_bcast:15 row_mask:0xf bank_mask:0xf bound_ctrl:1
	v_cndmask_b32_e32 v4, v9, v4, vcc
	v_mov_b32_dpp v7, v2 row_bcast:15 row_mask:0xf bank_mask:0xf bound_ctrl:1
	v_cmp_lt_f32_e32 vcc, v1, v6
	v_mov_b32_dpp v8, v3 row_bcast:15 row_mask:0xf bank_mask:0xf bound_ctrl:1
	v_cndmask_b32_e32 v1, v6, v1, vcc
	v_cmp_lt_f32_e32 vcc, v2, v7
	v_mov_b32_dpp v9, v4 row_bcast:15 row_mask:0xf bank_mask:0xf bound_ctrl:1
	v_cndmask_b32_e32 v2, v7, v2, vcc
	v_cmp_gt_f32_e32 vcc, v3, v8
	v_cndmask_b32_e32 v3, v8, v3, vcc
	v_cmp_gt_f32_e32 vcc, v4, v9
	v_mov_b32_dpp v6, v1 row_bcast:31 row_mask:0xf bank_mask:0xf bound_ctrl:1
	v_cndmask_b32_e32 v4, v9, v4, vcc
	v_mov_b32_dpp v7, v2 row_bcast:31 row_mask:0xf bank_mask:0xf bound_ctrl:1
	v_cmp_lt_f32_e32 vcc, v1, v6
	v_mbcnt_lo_u32_b32 v5, -1, 0
	v_mov_b32_dpp v8, v3 row_bcast:31 row_mask:0xf bank_mask:0xf bound_ctrl:1
	v_cndmask_b32_e32 v1, v6, v1, vcc
	v_cmp_lt_f32_e32 vcc, v2, v7
	v_mbcnt_hi_u32_b32 v5, -1, v5
	v_mov_b32_dpp v9, v4 row_bcast:31 row_mask:0xf bank_mask:0xf bound_ctrl:1
	v_cndmask_b32_e32 v2, v7, v2, vcc
	v_cmp_gt_f32_e32 vcc, v3, v8
	v_cndmask_b32_e32 v3, v8, v3, vcc
	v_cmp_gt_f32_e32 vcc, v4, v9
	v_lshlrev_b32_e32 v6, 2, v5
	v_cndmask_b32_e32 v4, v9, v4, vcc
	v_or_b32_e32 v7, 0xfc, v6
	ds_bpermute_b32 v1, v7, v1
	ds_bpermute_b32 v2, v7, v2
	;; [unrolled: 1-line block ×4, first 2 shown]
	v_cmp_eq_u32_e32 vcc, 0, v5
	s_and_saveexec_b64 s[2:3], vcc
	s_cbranch_execz .LBB33_7
; %bb.6:
	v_lshrrev_b32_e32 v7, 2, v0
	v_and_b32_e32 v7, 48, v7
	s_waitcnt lgkmcnt(0)
	ds_write2_b64 v7, v[1:2], v[3:4] offset0:8 offset1:9
.LBB33_7:
	s_or_b64 exec, exec, s[2:3]
	v_cmp_gt_u32_e32 vcc, 64, v0
	s_waitcnt lgkmcnt(0)
	s_barrier
	s_and_saveexec_b64 s[2:3], vcc
	s_cbranch_execz .LBB33_9
; %bb.8:
	v_and_b32_e32 v7, 3, v5
	v_lshlrev_b32_e32 v1, 4, v7
	ds_read2_b64 v[1:4], v1 offset0:8 offset1:9
	v_cmp_ne_u32_e32 vcc, 3, v7
	v_addc_co_u32_e32 v5, vcc, 0, v5, vcc
	v_lshlrev_b32_e32 v5, 2, v5
	s_waitcnt lgkmcnt(0)
	ds_bpermute_b32 v7, v5, v1
	ds_bpermute_b32 v8, v5, v2
	;; [unrolled: 1-line block ×4, first 2 shown]
	v_or_b32_e32 v6, 8, v6
	s_waitcnt lgkmcnt(3)
	v_cmp_gt_f32_e32 vcc, v1, v7
	v_cndmask_b32_e32 v1, v1, v7, vcc
	s_waitcnt lgkmcnt(2)
	v_cmp_gt_f32_e32 vcc, v2, v8
	v_cndmask_b32_e32 v2, v2, v8, vcc
	s_waitcnt lgkmcnt(1)
	v_cmp_lt_f32_e32 vcc, v3, v9
	v_cndmask_b32_e32 v3, v3, v9, vcc
	ds_bpermute_b32 v7, v6, v1
	s_waitcnt lgkmcnt(1)
	v_cmp_lt_f32_e32 vcc, v4, v5
	v_cndmask_b32_e32 v4, v4, v5, vcc
	ds_bpermute_b32 v5, v6, v2
	ds_bpermute_b32 v8, v6, v3
	;; [unrolled: 1-line block ×3, first 2 shown]
	s_waitcnt lgkmcnt(3)
	v_cmp_gt_f32_e32 vcc, v1, v7
	v_cndmask_b32_e32 v1, v1, v7, vcc
	s_waitcnt lgkmcnt(2)
	v_cmp_gt_f32_e32 vcc, v2, v5
	v_cndmask_b32_e32 v2, v2, v5, vcc
	s_waitcnt lgkmcnt(1)
	v_cmp_lt_f32_e32 vcc, v3, v8
	v_cndmask_b32_e32 v3, v3, v8, vcc
	s_waitcnt lgkmcnt(0)
	v_cmp_lt_f32_e32 vcc, v4, v6
	v_cndmask_b32_e32 v4, v4, v6, vcc
.LBB33_9:
	s_or_b64 exec, exec, s[2:3]
	s_mov_b64 s[2:3], 0
	s_branch .LBB33_23
.LBB33_10:
	s_mov_b64 s[16:17], 0
                                        ; implicit-def: $vgpr8
	s_cbranch_execnz .LBB33_199
	s_branch .LBB33_248
.LBB33_11:
	s_mov_b64 s[16:17], 0
                                        ; implicit-def: $vgpr8
	s_cbranch_execnz .LBB33_151
	s_branch .LBB33_159
.LBB33_12:
	s_mov_b64 s[34:35], -1
.LBB33_13:
	s_mov_b64 s[16:17], 0
                                        ; implicit-def: $vgpr8
	s_and_b64 vcc, exec, s[34:35]
	s_cbranch_vccz .LBB33_98
.LBB33_14:
	s_cmp_eq_u32 s33, 8
	s_cbranch_scc0 .LBB33_21
; %bb.15:
	s_mov_b32 s7, 0
	s_lshl_b32 s0, s6, 11
	s_mov_b32 s1, s7
	s_lshr_b64 s[2:3], s[42:43], 11
	s_lshl_b64 s[8:9], s[0:1], 3
	s_add_u32 s18, s40, s8
	s_addc_u32 s19, s41, s9
	s_cmp_lg_u64 s[2:3], s[6:7]
	s_cbranch_scc0 .LBB33_99
; %bb.16:
	s_waitcnt lgkmcnt(0)
	v_lshlrev_b32_e32 v5, 3, v0
	global_load_dwordx2 v[1:2], v5, s[18:19]
	global_load_dwordx2 v[3:4], v5, s[18:19] offset:2048
	v_mov_b32_e32 v6, s19
	v_add_co_u32_e32 v15, vcc, s18, v5
	v_addc_co_u32_e32 v16, vcc, 0, v6, vcc
	v_add_co_u32_e32 v5, vcc, 0x1000, v15
	v_addc_co_u32_e32 v6, vcc, 0, v16, vcc
	global_load_dwordx2 v[7:8], v[5:6], off
	global_load_dwordx2 v[9:10], v[5:6], off offset:2048
	v_add_co_u32_e32 v5, vcc, 0x2000, v15
	v_addc_co_u32_e32 v6, vcc, 0, v16, vcc
	global_load_dwordx2 v[11:12], v[5:6], off
	global_load_dwordx2 v[13:14], v[5:6], off offset:2048
	;; [unrolled: 4-line block ×3, first 2 shown]
	v_mbcnt_lo_u32_b32 v5, -1, 0
	v_mbcnt_hi_u32_b32 v5, -1, v5
	s_waitcnt vmcnt(6)
	v_cmp_lt_f32_e32 vcc, v3, v1
	v_cndmask_b32_e32 v6, v1, v3, vcc
	v_cmp_lt_f32_e32 vcc, v4, v2
	v_cndmask_b32_e32 v19, v2, v4, vcc
	v_cmp_lt_f32_e32 vcc, v1, v3
	v_cndmask_b32_e32 v1, v1, v3, vcc
	v_cmp_lt_f32_e32 vcc, v2, v4
	v_cndmask_b32_e32 v2, v2, v4, vcc
	s_waitcnt vmcnt(5)
	v_cmp_lt_f32_e32 vcc, v7, v6
	v_cndmask_b32_e32 v3, v6, v7, vcc
	v_cmp_lt_f32_e32 vcc, v8, v19
	v_cndmask_b32_e32 v4, v19, v8, vcc
	v_cmp_lt_f32_e32 vcc, v1, v7
	v_cndmask_b32_e32 v1, v1, v7, vcc
	v_cmp_lt_f32_e32 vcc, v2, v8
	v_cndmask_b32_e32 v2, v2, v8, vcc
	;; [unrolled: 9-line block ×6, first 2 shown]
	s_waitcnt vmcnt(0)
	v_cmp_lt_f32_e32 vcc, v17, v3
	v_cndmask_b32_e32 v3, v3, v17, vcc
	v_cmp_lt_f32_e32 vcc, v18, v4
	v_cndmask_b32_e32 v4, v4, v18, vcc
	;; [unrolled: 2-line block ×3, first 2 shown]
	v_cmp_lt_f32_e32 vcc, v2, v18
	v_mov_b32_dpp v6, v3 quad_perm:[1,0,3,2] row_mask:0xf bank_mask:0xf bound_ctrl:1
	v_cndmask_b32_e32 v2, v2, v18, vcc
	v_mov_b32_dpp v7, v4 quad_perm:[1,0,3,2] row_mask:0xf bank_mask:0xf bound_ctrl:1
	v_cmp_lt_f32_e32 vcc, v3, v6
	v_mov_b32_dpp v8, v1 quad_perm:[1,0,3,2] row_mask:0xf bank_mask:0xf bound_ctrl:1
	v_cndmask_b32_e32 v3, v6, v3, vcc
	v_cmp_lt_f32_e32 vcc, v4, v7
	v_mov_b32_dpp v9, v2 quad_perm:[1,0,3,2] row_mask:0xf bank_mask:0xf bound_ctrl:1
	v_cndmask_b32_e32 v4, v7, v4, vcc
	v_cmp_gt_f32_e32 vcc, v1, v8
	v_cndmask_b32_e32 v1, v8, v1, vcc
	v_cmp_gt_f32_e32 vcc, v2, v9
	v_mov_b32_dpp v6, v3 quad_perm:[2,3,0,1] row_mask:0xf bank_mask:0xf bound_ctrl:1
	v_cndmask_b32_e32 v2, v9, v2, vcc
	v_mov_b32_dpp v7, v4 quad_perm:[2,3,0,1] row_mask:0xf bank_mask:0xf bound_ctrl:1
	v_cmp_lt_f32_e32 vcc, v3, v6
	v_mov_b32_dpp v8, v1 quad_perm:[2,3,0,1] row_mask:0xf bank_mask:0xf bound_ctrl:1
	v_cndmask_b32_e32 v3, v6, v3, vcc
	v_cmp_lt_f32_e32 vcc, v4, v7
	v_mov_b32_dpp v9, v2 quad_perm:[2,3,0,1] row_mask:0xf bank_mask:0xf bound_ctrl:1
	v_cndmask_b32_e32 v4, v7, v4, vcc
	v_cmp_gt_f32_e32 vcc, v1, v8
	v_cndmask_b32_e32 v1, v8, v1, vcc
	v_cmp_gt_f32_e32 vcc, v2, v9
	v_mov_b32_dpp v6, v3 row_ror:4 row_mask:0xf bank_mask:0xf bound_ctrl:1
	v_cndmask_b32_e32 v2, v9, v2, vcc
	v_mov_b32_dpp v7, v4 row_ror:4 row_mask:0xf bank_mask:0xf bound_ctrl:1
	v_cmp_lt_f32_e32 vcc, v3, v6
	v_mov_b32_dpp v8, v1 row_ror:4 row_mask:0xf bank_mask:0xf bound_ctrl:1
	v_cndmask_b32_e32 v3, v6, v3, vcc
	v_cmp_lt_f32_e32 vcc, v4, v7
	v_mov_b32_dpp v9, v2 row_ror:4 row_mask:0xf bank_mask:0xf bound_ctrl:1
	v_cndmask_b32_e32 v4, v7, v4, vcc
	v_cmp_gt_f32_e32 vcc, v1, v8
	v_cndmask_b32_e32 v1, v8, v1, vcc
	v_cmp_gt_f32_e32 vcc, v2, v9
	v_mov_b32_dpp v6, v3 row_ror:8 row_mask:0xf bank_mask:0xf bound_ctrl:1
	v_cndmask_b32_e32 v2, v9, v2, vcc
	v_mov_b32_dpp v7, v4 row_ror:8 row_mask:0xf bank_mask:0xf bound_ctrl:1
	v_cmp_lt_f32_e32 vcc, v3, v6
	v_mov_b32_dpp v8, v1 row_ror:8 row_mask:0xf bank_mask:0xf bound_ctrl:1
	v_cndmask_b32_e32 v3, v6, v3, vcc
	v_cmp_lt_f32_e32 vcc, v4, v7
	v_mov_b32_dpp v9, v2 row_ror:8 row_mask:0xf bank_mask:0xf bound_ctrl:1
	v_cndmask_b32_e32 v4, v7, v4, vcc
	v_cmp_gt_f32_e32 vcc, v1, v8
	v_cndmask_b32_e32 v1, v8, v1, vcc
	v_cmp_gt_f32_e32 vcc, v2, v9
	v_mov_b32_dpp v6, v3 row_bcast:15 row_mask:0xf bank_mask:0xf bound_ctrl:1
	v_cndmask_b32_e32 v2, v9, v2, vcc
	v_mov_b32_dpp v7, v4 row_bcast:15 row_mask:0xf bank_mask:0xf bound_ctrl:1
	v_cmp_lt_f32_e32 vcc, v3, v6
	v_mov_b32_dpp v8, v1 row_bcast:15 row_mask:0xf bank_mask:0xf bound_ctrl:1
	v_cndmask_b32_e32 v3, v6, v3, vcc
	v_cmp_lt_f32_e32 vcc, v4, v7
	v_mov_b32_dpp v9, v2 row_bcast:15 row_mask:0xf bank_mask:0xf bound_ctrl:1
	v_cndmask_b32_e32 v4, v7, v4, vcc
	v_cmp_gt_f32_e32 vcc, v1, v8
	v_cndmask_b32_e32 v1, v8, v1, vcc
	v_cmp_gt_f32_e32 vcc, v2, v9
	v_mov_b32_dpp v6, v3 row_bcast:31 row_mask:0xf bank_mask:0xf bound_ctrl:1
	v_cndmask_b32_e32 v2, v9, v2, vcc
	v_mov_b32_dpp v7, v4 row_bcast:31 row_mask:0xf bank_mask:0xf bound_ctrl:1
	v_cmp_lt_f32_e32 vcc, v3, v6
	v_mov_b32_dpp v8, v1 row_bcast:31 row_mask:0xf bank_mask:0xf bound_ctrl:1
	v_cndmask_b32_e32 v3, v6, v3, vcc
	v_cmp_lt_f32_e32 vcc, v4, v7
	v_mov_b32_dpp v9, v2 row_bcast:31 row_mask:0xf bank_mask:0xf bound_ctrl:1
	v_cndmask_b32_e32 v4, v7, v4, vcc
	v_cmp_gt_f32_e32 vcc, v1, v8
	v_cndmask_b32_e32 v7, v8, v1, vcc
	v_cmp_gt_f32_e32 vcc, v2, v9
	v_lshlrev_b32_e32 v6, 2, v5
	v_cndmask_b32_e32 v8, v9, v2, vcc
	v_or_b32_e32 v9, 0xfc, v6
	ds_bpermute_b32 v1, v9, v3
	ds_bpermute_b32 v2, v9, v4
	;; [unrolled: 1-line block ×4, first 2 shown]
	v_cmp_eq_u32_e32 vcc, 0, v5
	s_and_saveexec_b64 s[2:3], vcc
	s_cbranch_execz .LBB33_18
; %bb.17:
	v_lshrrev_b32_e32 v7, 2, v0
	v_and_b32_e32 v7, 48, v7
	s_waitcnt lgkmcnt(0)
	ds_write2_b64 v7, v[1:2], v[3:4] offset0:40 offset1:41
.LBB33_18:
	s_or_b64 exec, exec, s[2:3]
	v_cmp_gt_u32_e32 vcc, 64, v0
	s_waitcnt lgkmcnt(0)
	s_barrier
	s_and_saveexec_b64 s[2:3], vcc
	s_cbranch_execz .LBB33_20
; %bb.19:
	v_and_b32_e32 v7, 3, v5
	v_lshlrev_b32_e32 v1, 4, v7
	ds_read2_b64 v[1:4], v1 offset0:40 offset1:41
	v_cmp_ne_u32_e32 vcc, 3, v7
	v_addc_co_u32_e32 v5, vcc, 0, v5, vcc
	v_lshlrev_b32_e32 v5, 2, v5
	s_waitcnt lgkmcnt(0)
	ds_bpermute_b32 v7, v5, v1
	ds_bpermute_b32 v8, v5, v2
	;; [unrolled: 1-line block ×4, first 2 shown]
	v_or_b32_e32 v6, 8, v6
	s_waitcnt lgkmcnt(3)
	v_cmp_gt_f32_e32 vcc, v1, v7
	v_cndmask_b32_e32 v1, v1, v7, vcc
	s_waitcnt lgkmcnt(2)
	v_cmp_gt_f32_e32 vcc, v2, v8
	v_cndmask_b32_e32 v2, v2, v8, vcc
	s_waitcnt lgkmcnt(1)
	v_cmp_lt_f32_e32 vcc, v3, v9
	v_cndmask_b32_e32 v3, v3, v9, vcc
	ds_bpermute_b32 v7, v6, v1
	s_waitcnt lgkmcnt(1)
	v_cmp_lt_f32_e32 vcc, v4, v5
	v_cndmask_b32_e32 v4, v4, v5, vcc
	ds_bpermute_b32 v5, v6, v2
	ds_bpermute_b32 v8, v6, v3
	;; [unrolled: 1-line block ×3, first 2 shown]
	s_waitcnt lgkmcnt(3)
	v_cmp_gt_f32_e32 vcc, v1, v7
	v_cndmask_b32_e32 v1, v1, v7, vcc
	s_waitcnt lgkmcnt(2)
	v_cmp_gt_f32_e32 vcc, v2, v5
	v_cndmask_b32_e32 v2, v2, v5, vcc
	s_waitcnt lgkmcnt(1)
	v_cmp_lt_f32_e32 vcc, v3, v8
	v_cndmask_b32_e32 v3, v3, v8, vcc
	s_waitcnt lgkmcnt(0)
	v_cmp_lt_f32_e32 vcc, v4, v6
	v_cndmask_b32_e32 v4, v4, v6, vcc
.LBB33_20:
	s_or_b64 exec, exec, s[2:3]
	s_mov_b64 s[2:3], 0
	s_branch .LBB33_100
.LBB33_21:
                                        ; implicit-def: $vgpr8
	s_branch .LBB33_159
.LBB33_22:
	s_mov_b64 s[2:3], -1
                                        ; implicit-def: $vgpr4
.LBB33_23:
	s_and_b64 vcc, exec, s[2:3]
	s_cbranch_vccz .LBB33_93
; %bb.24:
	s_sub_i32 s48, s42, s0
	v_cmp_gt_u32_e32 vcc, s48, v0
	v_mov_b32_e32 v30, 0
	v_mov_b32_e32 v2, 0
	;; [unrolled: 1-line block ×3, first 2 shown]
	s_and_saveexec_b64 s[0:1], vcc
	s_cbranch_execz .LBB33_26
; %bb.25:
	v_lshlrev_b32_e32 v1, 3, v0
	global_load_dwordx2 v[1:2], v1, s[44:45]
.LBB33_26:
	s_or_b64 exec, exec, s[0:1]
	v_or_b32_e32 v3, 0x100, v0
	v_cmp_gt_u32_e64 s[30:31], s48, v3
	v_mov_b32_e32 v29, 0
	s_and_saveexec_b64 s[0:1], s[30:31]
	s_cbranch_execz .LBB33_28
; %bb.27:
	v_lshlrev_b32_e32 v3, 3, v0
	global_load_dwordx2 v[29:30], v3, s[44:45] offset:2048
.LBB33_28:
	s_or_b64 exec, exec, s[0:1]
	v_or_b32_e32 v3, 0x200, v0
	v_cmp_gt_u32_e64 s[28:29], s48, v3
	v_mov_b32_e32 v28, 0
	v_mov_b32_e32 v34, 0
	v_mov_b32_e32 v33, 0
	s_and_saveexec_b64 s[0:1], s[28:29]
	s_cbranch_execz .LBB33_30
; %bb.29:
	v_lshlrev_b32_e32 v3, 3, v3
	global_load_dwordx2 v[33:34], v3, s[44:45]
.LBB33_30:
	s_or_b64 exec, exec, s[0:1]
	v_or_b32_e32 v3, 0x300, v0
	v_cmp_gt_u32_e64 s[26:27], s48, v3
	v_mov_b32_e32 v27, 0
	s_and_saveexec_b64 s[0:1], s[26:27]
	s_cbranch_execz .LBB33_32
; %bb.31:
	v_lshlrev_b32_e32 v3, 3, v3
	global_load_dwordx2 v[27:28], v3, s[44:45]
.LBB33_32:
	s_or_b64 exec, exec, s[0:1]
	v_or_b32_e32 v3, 0x400, v0
	v_cmp_gt_u32_e64 s[24:25], s48, v3
	v_mov_b32_e32 v24, 0
	v_mov_b32_e32 v32, 0
	v_mov_b32_e32 v31, 0
	s_and_saveexec_b64 s[0:1], s[24:25]
	s_cbranch_execz .LBB33_34
; %bb.33:
	v_lshlrev_b32_e32 v3, 3, v3
	global_load_dwordx2 v[31:32], v3, s[44:45]
.LBB33_34:
	s_or_b64 exec, exec, s[0:1]
	v_or_b32_e32 v3, 0x500, v0
	v_cmp_gt_u32_e64 s[22:23], s48, v3
	v_mov_b32_e32 v23, 0
	s_and_saveexec_b64 s[0:1], s[22:23]
	s_cbranch_execz .LBB33_36
; %bb.35:
	v_lshlrev_b32_e32 v3, 3, v3
	global_load_dwordx2 v[23:24], v3, s[44:45]
.LBB33_36:
	;; [unrolled: 22-line block ×6, first 2 shown]
	s_or_b64 exec, exec, s[0:1]
	v_or_b32_e32 v3, 0xe00, v0
	v_cmp_gt_u32_e64 s[0:1], s48, v3
	v_mov_b32_e32 v6, 0
	v_mov_b32_e32 v10, 0
	;; [unrolled: 1-line block ×3, first 2 shown]
	s_and_saveexec_b64 s[46:47], s[0:1]
	s_cbranch_execz .LBB33_54
; %bb.53:
	v_lshlrev_b32_e32 v3, 3, v3
	global_load_dwordx2 v[9:10], v3, s[44:45]
.LBB33_54:
	s_or_b64 exec, exec, s[46:47]
	v_or_b32_e32 v3, 0xf00, v0
	v_cmp_gt_u32_e32 vcc, s48, v3
	v_mov_b32_e32 v5, 0
	s_and_saveexec_b64 s[46:47], vcc
	s_cbranch_execz .LBB33_56
; %bb.55:
	v_lshlrev_b32_e32 v3, 3, v3
	global_load_dwordx2 v[5:6], v3, s[44:45]
.LBB33_56:
	s_or_b64 exec, exec, s[46:47]
	s_waitcnt vmcnt(0)
	v_mov_b32_e32 v3, v1
	v_mov_b32_e32 v4, v2
	s_and_saveexec_b64 s[44:45], s[30:31]
	s_cbranch_execnz .LBB33_282
; %bb.57:
	s_or_b64 exec, exec, s[44:45]
	s_and_saveexec_b64 s[30:31], s[28:29]
	s_cbranch_execnz .LBB33_283
.LBB33_58:
	s_or_b64 exec, exec, s[30:31]
	s_and_saveexec_b64 s[28:29], s[26:27]
	s_cbranch_execnz .LBB33_284
.LBB33_59:
	s_or_b64 exec, exec, s[28:29]
	s_and_saveexec_b64 s[26:27], s[24:25]
	s_cbranch_execnz .LBB33_285
.LBB33_60:
	s_or_b64 exec, exec, s[26:27]
	s_and_saveexec_b64 s[24:25], s[22:23]
	s_cbranch_execnz .LBB33_286
.LBB33_61:
	s_or_b64 exec, exec, s[24:25]
	s_and_saveexec_b64 s[22:23], s[20:21]
	s_cbranch_execnz .LBB33_287
.LBB33_62:
	s_or_b64 exec, exec, s[22:23]
	s_and_saveexec_b64 s[20:21], s[18:19]
	s_cbranch_execnz .LBB33_288
.LBB33_63:
	s_or_b64 exec, exec, s[20:21]
	s_and_saveexec_b64 s[18:19], s[16:17]
	s_cbranch_execnz .LBB33_289
.LBB33_64:
	s_or_b64 exec, exec, s[18:19]
	s_and_saveexec_b64 s[16:17], s[14:15]
	s_cbranch_execnz .LBB33_290
.LBB33_65:
	s_or_b64 exec, exec, s[16:17]
	s_and_saveexec_b64 s[14:15], s[12:13]
	s_cbranch_execnz .LBB33_291
.LBB33_66:
	s_or_b64 exec, exec, s[14:15]
	s_and_saveexec_b64 s[12:13], s[10:11]
	s_cbranch_execnz .LBB33_292
.LBB33_67:
	s_or_b64 exec, exec, s[12:13]
	s_and_saveexec_b64 s[10:11], s[8:9]
	s_cbranch_execnz .LBB33_293
.LBB33_68:
	s_or_b64 exec, exec, s[10:11]
	s_and_saveexec_b64 s[8:9], s[2:3]
	s_cbranch_execnz .LBB33_294
.LBB33_69:
	s_or_b64 exec, exec, s[8:9]
	s_and_saveexec_b64 s[2:3], s[0:1]
	s_cbranch_execnz .LBB33_295
.LBB33_70:
	s_or_b64 exec, exec, s[2:3]
	s_and_saveexec_b64 s[0:1], vcc
.LBB33_71:
	v_cmp_lt_f32_e32 vcc, v5, v1
	v_cndmask_b32_e32 v1, v1, v5, vcc
	v_cmp_lt_f32_e32 vcc, v6, v2
	v_cndmask_b32_e32 v2, v2, v6, vcc
	;; [unrolled: 2-line block ×4, first 2 shown]
.LBB33_72:
	s_or_b64 exec, exec, s[0:1]
	v_mbcnt_lo_u32_b32 v5, -1, 0
	v_mbcnt_hi_u32_b32 v5, -1, v5
	v_and_b32_e32 v6, 63, v5
	v_cmp_ne_u32_e32 vcc, 63, v6
	v_addc_co_u32_e32 v7, vcc, 0, v5, vcc
	v_lshlrev_b32_e32 v7, 2, v7
	ds_bpermute_b32 v11, v7, v1
	ds_bpermute_b32 v10, v7, v2
	;; [unrolled: 1-line block ×4, first 2 shown]
	s_min_u32 s2, s48, 0x100
	v_and_b32_e32 v7, 0xc0, v0
	v_sub_u32_e64 v7, s2, v7 clamp
	v_add_u32_e32 v12, 1, v6
	v_cmp_lt_u32_e32 vcc, v12, v7
	s_and_saveexec_b64 s[0:1], vcc
	s_xor_b64 s[0:1], exec, s[0:1]
	s_cbranch_execz .LBB33_74
; %bb.73:
	s_waitcnt lgkmcnt(3)
	v_cmp_gt_f32_e32 vcc, v1, v11
	v_cndmask_b32_e32 v1, v1, v11, vcc
	s_waitcnt lgkmcnt(2)
	v_cmp_gt_f32_e32 vcc, v2, v10
	v_cndmask_b32_e32 v2, v2, v10, vcc
	s_waitcnt lgkmcnt(1)
	v_cmp_lt_f32_e32 vcc, v3, v9
	v_cndmask_b32_e32 v3, v3, v9, vcc
	s_waitcnt lgkmcnt(0)
	v_cmp_lt_f32_e32 vcc, v4, v8
	v_cndmask_b32_e32 v4, v4, v8, vcc
.LBB33_74:
	s_or_b64 exec, exec, s[0:1]
	v_cmp_gt_u32_e32 vcc, 62, v6
	s_waitcnt lgkmcnt(0)
	v_cndmask_b32_e64 v8, 0, 2, vcc
	v_add_lshl_u32 v8, v8, v5, 2
	ds_bpermute_b32 v11, v8, v1
	ds_bpermute_b32 v10, v8, v2
	ds_bpermute_b32 v9, v8, v3
	ds_bpermute_b32 v8, v8, v4
	v_add_u32_e32 v12, 2, v6
	v_cmp_lt_u32_e32 vcc, v12, v7
	s_and_saveexec_b64 s[0:1], vcc
	s_cbranch_execz .LBB33_76
; %bb.75:
	s_waitcnt lgkmcnt(3)
	v_cmp_gt_f32_e32 vcc, v1, v11
	v_cndmask_b32_e32 v1, v1, v11, vcc
	s_waitcnt lgkmcnt(2)
	v_cmp_gt_f32_e32 vcc, v2, v10
	v_cndmask_b32_e32 v2, v2, v10, vcc
	s_waitcnt lgkmcnt(1)
	v_cmp_lt_f32_e32 vcc, v3, v9
	v_cndmask_b32_e32 v3, v3, v9, vcc
	s_waitcnt lgkmcnt(0)
	v_cmp_lt_f32_e32 vcc, v4, v8
	v_cndmask_b32_e32 v4, v4, v8, vcc
.LBB33_76:
	s_or_b64 exec, exec, s[0:1]
	v_cmp_gt_u32_e32 vcc, 60, v6
	s_waitcnt lgkmcnt(0)
	v_cndmask_b32_e64 v8, 0, 4, vcc
	v_add_lshl_u32 v8, v8, v5, 2
	ds_bpermute_b32 v11, v8, v1
	ds_bpermute_b32 v10, v8, v2
	ds_bpermute_b32 v9, v8, v3
	ds_bpermute_b32 v8, v8, v4
	v_add_u32_e32 v12, 4, v6
	v_cmp_lt_u32_e32 vcc, v12, v7
	s_and_saveexec_b64 s[0:1], vcc
	;; [unrolled: 27-line block ×4, first 2 shown]
	s_cbranch_execz .LBB33_82
; %bb.81:
	s_waitcnt lgkmcnt(3)
	v_cmp_gt_f32_e32 vcc, v1, v11
	v_cndmask_b32_e32 v1, v1, v11, vcc
	s_waitcnt lgkmcnt(2)
	v_cmp_gt_f32_e32 vcc, v2, v10
	v_cndmask_b32_e32 v2, v2, v10, vcc
	s_waitcnt lgkmcnt(1)
	v_cmp_lt_f32_e32 vcc, v3, v9
	v_cndmask_b32_e32 v3, v3, v9, vcc
	s_waitcnt lgkmcnt(0)
	v_cmp_lt_f32_e32 vcc, v4, v8
	v_cndmask_b32_e32 v4, v4, v8, vcc
.LBB33_82:
	s_or_b64 exec, exec, s[0:1]
	s_waitcnt lgkmcnt(0)
	v_lshlrev_b32_e32 v8, 2, v5
	v_or_b32_e32 v9, 0x80, v8
	ds_bpermute_b32 v12, v9, v1
	ds_bpermute_b32 v11, v9, v2
	;; [unrolled: 1-line block ×4, first 2 shown]
	v_add_u32_e32 v6, 32, v6
	v_cmp_lt_u32_e32 vcc, v6, v7
	s_and_saveexec_b64 s[0:1], vcc
	s_cbranch_execz .LBB33_84
; %bb.83:
	s_waitcnt lgkmcnt(3)
	v_cmp_gt_f32_e32 vcc, v1, v12
	v_cndmask_b32_e32 v1, v1, v12, vcc
	s_waitcnt lgkmcnt(2)
	v_cmp_gt_f32_e32 vcc, v2, v11
	v_cndmask_b32_e32 v2, v2, v11, vcc
	s_waitcnt lgkmcnt(1)
	v_cmp_lt_f32_e32 vcc, v3, v10
	v_cndmask_b32_e32 v3, v3, v10, vcc
	s_waitcnt lgkmcnt(0)
	v_cmp_lt_f32_e32 vcc, v4, v9
	v_cndmask_b32_e32 v4, v4, v9, vcc
.LBB33_84:
	s_or_b64 exec, exec, s[0:1]
	v_cmp_eq_u32_e32 vcc, 0, v5
	s_and_saveexec_b64 s[0:1], vcc
; %bb.85:
	v_lshrrev_b32_e32 v6, 2, v0
	v_and_b32_e32 v6, 48, v6
	ds_write2_b64 v6, v[1:2], v[3:4] offset1:1
; %bb.86:
	s_or_b64 exec, exec, s[0:1]
	v_cmp_gt_u32_e32 vcc, 4, v0
	s_waitcnt lgkmcnt(0)
	s_barrier
	s_and_saveexec_b64 s[0:1], vcc
	s_cbranch_execz .LBB33_92
; %bb.87:
	v_lshlrev_b32_e32 v1, 4, v5
	ds_read2_b64 v[1:4], v1 offset1:1
	v_and_b32_e32 v6, 3, v5
	v_cmp_ne_u32_e32 vcc, 3, v6
	v_addc_co_u32_e32 v5, vcc, 0, v5, vcc
	v_lshlrev_b32_e32 v5, 2, v5
	s_waitcnt lgkmcnt(0)
	ds_bpermute_b32 v10, v5, v1
	ds_bpermute_b32 v9, v5, v2
	;; [unrolled: 1-line block ×4, first 2 shown]
	s_add_i32 s2, s2, 63
	s_lshr_b32 s8, s2, 6
	v_add_u32_e32 v11, 1, v6
	v_cmp_gt_u32_e32 vcc, s8, v11
	s_and_saveexec_b64 s[2:3], vcc
	s_cbranch_execz .LBB33_89
; %bb.88:
	s_waitcnt lgkmcnt(3)
	v_cmp_gt_f32_e32 vcc, v1, v10
	v_cndmask_b32_e32 v1, v1, v10, vcc
	s_waitcnt lgkmcnt(2)
	v_cmp_gt_f32_e32 vcc, v2, v9
	v_cndmask_b32_e32 v2, v2, v9, vcc
	s_waitcnt lgkmcnt(1)
	v_cmp_lt_f32_e32 vcc, v3, v7
	v_cndmask_b32_e32 v3, v3, v7, vcc
	s_waitcnt lgkmcnt(0)
	v_cmp_lt_f32_e32 vcc, v4, v5
	v_cndmask_b32_e32 v4, v4, v5, vcc
.LBB33_89:
	s_or_b64 exec, exec, s[2:3]
	s_waitcnt lgkmcnt(0)
	v_or_b32_e32 v5, 8, v8
	ds_bpermute_b32 v9, v5, v1
	ds_bpermute_b32 v8, v5, v2
	;; [unrolled: 1-line block ×4, first 2 shown]
	v_add_u32_e32 v6, 2, v6
	v_cmp_gt_u32_e32 vcc, s8, v6
	s_and_saveexec_b64 s[2:3], vcc
	s_cbranch_execz .LBB33_91
; %bb.90:
	s_waitcnt lgkmcnt(3)
	v_cmp_gt_f32_e32 vcc, v1, v9
	v_cndmask_b32_e32 v1, v1, v9, vcc
	s_waitcnt lgkmcnt(2)
	v_cmp_gt_f32_e32 vcc, v2, v8
	v_cndmask_b32_e32 v2, v2, v8, vcc
	s_waitcnt lgkmcnt(1)
	v_cmp_lt_f32_e32 vcc, v3, v7
	v_cndmask_b32_e32 v3, v3, v7, vcc
	s_waitcnt lgkmcnt(0)
	v_cmp_lt_f32_e32 vcc, v4, v5
	v_cndmask_b32_e32 v4, v4, v5, vcc
.LBB33_91:
	s_or_b64 exec, exec, s[2:3]
.LBB33_92:
	s_or_b64 exec, exec, s[0:1]
.LBB33_93:
	v_cmp_eq_u32_e32 vcc, 0, v0
	s_mov_b64 s[16:17], 0
                                        ; implicit-def: $vgpr8
	s_and_saveexec_b64 s[0:1], vcc
	s_xor_b64 s[0:1], exec, s[0:1]
	s_cbranch_execz .LBB33_97
; %bb.94:
	s_cmp_eq_u64 s[42:43], 0
	s_waitcnt lgkmcnt(2)
	v_mov_b32_e32 v8, s39
	s_waitcnt lgkmcnt(1)
	v_mov_b32_e32 v7, s38
	v_mov_b32_e32 v6, s37
	s_waitcnt lgkmcnt(0)
	v_mov_b32_e32 v5, s36
	s_cbranch_scc1 .LBB33_96
; %bb.95:
	v_mov_b32_e32 v5, s36
	v_cmp_gt_f32_e32 vcc, s36, v1
	v_cndmask_b32_e32 v5, v5, v1, vcc
	v_mov_b32_e32 v1, s37
	v_cmp_gt_f32_e32 vcc, s37, v2
	v_cndmask_b32_e32 v6, v1, v2, vcc
	v_mov_b32_e32 v1, s38
	v_cmp_lt_f32_e32 vcc, s38, v3
	v_cndmask_b32_e32 v7, v1, v3, vcc
	v_mov_b32_e32 v1, s39
	v_cmp_lt_f32_e32 vcc, s39, v4
	v_cndmask_b32_e32 v8, v1, v4, vcc
.LBB33_96:
	s_mov_b64 s[16:17], exec
.LBB33_97:
	s_or_b64 exec, exec, s[0:1]
	s_and_b64 vcc, exec, s[34:35]
	s_cbranch_vccnz .LBB33_14
.LBB33_98:
	s_branch .LBB33_159
.LBB33_99:
	s_mov_b64 s[2:3], -1
                                        ; implicit-def: $vgpr4
.LBB33_100:
	s_and_b64 vcc, exec, s[2:3]
	s_cbranch_vccz .LBB33_146
; %bb.101:
	s_sub_i32 s22, s42, s0
	v_cmp_gt_u32_e32 vcc, s22, v0
	v_mov_b32_e32 v14, 0
	v_mov_b32_e32 v2, 0
	;; [unrolled: 1-line block ×3, first 2 shown]
	s_and_saveexec_b64 s[0:1], vcc
	s_cbranch_execz .LBB33_103
; %bb.102:
	v_lshlrev_b32_e32 v1, 3, v0
	global_load_dwordx2 v[1:2], v1, s[18:19]
.LBB33_103:
	s_or_b64 exec, exec, s[0:1]
	v_or_b32_e32 v3, 0x100, v0
	v_cmp_gt_u32_e64 s[14:15], s22, v3
	v_mov_b32_e32 v13, 0
	s_and_saveexec_b64 s[0:1], s[14:15]
	s_cbranch_execz .LBB33_105
; %bb.104:
	v_lshlrev_b32_e32 v3, 3, v0
	global_load_dwordx2 v[13:14], v3, s[18:19] offset:2048
.LBB33_105:
	s_or_b64 exec, exec, s[0:1]
	v_or_b32_e32 v3, 0x200, v0
	v_cmp_gt_u32_e64 s[12:13], s22, v3
	v_mov_b32_e32 v12, 0
	v_mov_b32_e32 v18, 0
	;; [unrolled: 1-line block ×3, first 2 shown]
	s_and_saveexec_b64 s[0:1], s[12:13]
	s_cbranch_execz .LBB33_107
; %bb.106:
	v_lshlrev_b32_e32 v3, 3, v3
	global_load_dwordx2 v[17:18], v3, s[18:19]
.LBB33_107:
	s_or_b64 exec, exec, s[0:1]
	v_or_b32_e32 v3, 0x300, v0
	v_cmp_gt_u32_e64 s[10:11], s22, v3
	v_mov_b32_e32 v11, 0
	s_and_saveexec_b64 s[0:1], s[10:11]
	s_cbranch_execz .LBB33_109
; %bb.108:
	v_lshlrev_b32_e32 v3, 3, v3
	global_load_dwordx2 v[11:12], v3, s[18:19]
.LBB33_109:
	s_or_b64 exec, exec, s[0:1]
	v_or_b32_e32 v3, 0x400, v0
	v_cmp_gt_u32_e64 s[8:9], s22, v3
	s_waitcnt lgkmcnt(2)
	v_mov_b32_e32 v8, 0
	v_mov_b32_e32 v16, 0
	;; [unrolled: 1-line block ×3, first 2 shown]
	s_and_saveexec_b64 s[0:1], s[8:9]
	s_cbranch_execz .LBB33_111
; %bb.110:
	v_lshlrev_b32_e32 v3, 3, v3
	global_load_dwordx2 v[15:16], v3, s[18:19]
.LBB33_111:
	s_or_b64 exec, exec, s[0:1]
	v_or_b32_e32 v3, 0x500, v0
	v_cmp_gt_u32_e64 s[2:3], s22, v3
	s_waitcnt lgkmcnt(1)
	v_mov_b32_e32 v7, 0
	s_and_saveexec_b64 s[0:1], s[2:3]
	s_cbranch_execz .LBB33_113
; %bb.112:
	v_lshlrev_b32_e32 v3, 3, v3
	global_load_dwordx2 v[7:8], v3, s[18:19]
.LBB33_113:
	s_or_b64 exec, exec, s[0:1]
	v_or_b32_e32 v3, 0x600, v0
	v_cmp_gt_u32_e64 s[0:1], s22, v3
	v_mov_b32_e32 v6, 0
	v_mov_b32_e32 v10, 0
	;; [unrolled: 1-line block ×3, first 2 shown]
	s_and_saveexec_b64 s[20:21], s[0:1]
	s_cbranch_execz .LBB33_115
; %bb.114:
	v_lshlrev_b32_e32 v3, 3, v3
	global_load_dwordx2 v[9:10], v3, s[18:19]
.LBB33_115:
	s_or_b64 exec, exec, s[20:21]
	v_or_b32_e32 v3, 0x700, v0
	v_cmp_gt_u32_e32 vcc, s22, v3
	s_waitcnt lgkmcnt(0)
	v_mov_b32_e32 v5, 0
	s_and_saveexec_b64 s[20:21], vcc
	s_cbranch_execz .LBB33_117
; %bb.116:
	v_lshlrev_b32_e32 v3, 3, v3
	global_load_dwordx2 v[5:6], v3, s[18:19]
.LBB33_117:
	s_or_b64 exec, exec, s[20:21]
	s_waitcnt vmcnt(0)
	v_mov_b32_e32 v3, v1
	v_mov_b32_e32 v4, v2
	s_and_saveexec_b64 s[18:19], s[14:15]
	s_cbranch_execnz .LBB33_296
; %bb.118:
	s_or_b64 exec, exec, s[18:19]
	s_and_saveexec_b64 s[14:15], s[12:13]
	s_cbranch_execnz .LBB33_297
.LBB33_119:
	s_or_b64 exec, exec, s[14:15]
	s_and_saveexec_b64 s[12:13], s[10:11]
	s_cbranch_execnz .LBB33_298
.LBB33_120:
	s_or_b64 exec, exec, s[12:13]
	s_and_saveexec_b64 s[10:11], s[8:9]
	s_cbranch_execnz .LBB33_299
.LBB33_121:
	s_or_b64 exec, exec, s[10:11]
	s_and_saveexec_b64 s[8:9], s[2:3]
	s_cbranch_execnz .LBB33_300
.LBB33_122:
	s_or_b64 exec, exec, s[8:9]
	s_and_saveexec_b64 s[2:3], s[0:1]
	s_cbranch_execnz .LBB33_301
.LBB33_123:
	s_or_b64 exec, exec, s[2:3]
	s_and_saveexec_b64 s[0:1], vcc
.LBB33_124:
	v_cmp_lt_f32_e32 vcc, v5, v1
	v_cndmask_b32_e32 v1, v1, v5, vcc
	v_cmp_lt_f32_e32 vcc, v6, v2
	v_cndmask_b32_e32 v2, v2, v6, vcc
	;; [unrolled: 2-line block ×4, first 2 shown]
.LBB33_125:
	s_or_b64 exec, exec, s[0:1]
	v_mbcnt_lo_u32_b32 v5, -1, 0
	v_mbcnt_hi_u32_b32 v5, -1, v5
	v_and_b32_e32 v6, 63, v5
	v_cmp_ne_u32_e32 vcc, 63, v6
	v_addc_co_u32_e32 v7, vcc, 0, v5, vcc
	v_lshlrev_b32_e32 v7, 2, v7
	ds_bpermute_b32 v11, v7, v1
	ds_bpermute_b32 v10, v7, v2
	;; [unrolled: 1-line block ×4, first 2 shown]
	s_min_u32 s2, s22, 0x100
	v_and_b32_e32 v7, 0xc0, v0
	v_sub_u32_e64 v7, s2, v7 clamp
	v_add_u32_e32 v12, 1, v6
	v_cmp_lt_u32_e32 vcc, v12, v7
	s_and_saveexec_b64 s[0:1], vcc
	s_xor_b64 s[0:1], exec, s[0:1]
	s_cbranch_execz .LBB33_127
; %bb.126:
	s_waitcnt lgkmcnt(3)
	v_cmp_gt_f32_e32 vcc, v1, v11
	v_cndmask_b32_e32 v1, v1, v11, vcc
	s_waitcnt lgkmcnt(2)
	v_cmp_gt_f32_e32 vcc, v2, v10
	v_cndmask_b32_e32 v2, v2, v10, vcc
	s_waitcnt lgkmcnt(1)
	v_cmp_lt_f32_e32 vcc, v3, v9
	v_cndmask_b32_e32 v3, v3, v9, vcc
	s_waitcnt lgkmcnt(0)
	v_cmp_lt_f32_e32 vcc, v4, v8
	v_cndmask_b32_e32 v4, v4, v8, vcc
.LBB33_127:
	s_or_b64 exec, exec, s[0:1]
	v_cmp_gt_u32_e32 vcc, 62, v6
	s_waitcnt lgkmcnt(0)
	v_cndmask_b32_e64 v8, 0, 2, vcc
	v_add_lshl_u32 v8, v8, v5, 2
	ds_bpermute_b32 v11, v8, v1
	ds_bpermute_b32 v10, v8, v2
	ds_bpermute_b32 v9, v8, v3
	ds_bpermute_b32 v8, v8, v4
	v_add_u32_e32 v12, 2, v6
	v_cmp_lt_u32_e32 vcc, v12, v7
	s_and_saveexec_b64 s[0:1], vcc
	s_cbranch_execz .LBB33_129
; %bb.128:
	s_waitcnt lgkmcnt(3)
	v_cmp_gt_f32_e32 vcc, v1, v11
	v_cndmask_b32_e32 v1, v1, v11, vcc
	s_waitcnt lgkmcnt(2)
	v_cmp_gt_f32_e32 vcc, v2, v10
	v_cndmask_b32_e32 v2, v2, v10, vcc
	s_waitcnt lgkmcnt(1)
	v_cmp_lt_f32_e32 vcc, v3, v9
	v_cndmask_b32_e32 v3, v3, v9, vcc
	s_waitcnt lgkmcnt(0)
	v_cmp_lt_f32_e32 vcc, v4, v8
	v_cndmask_b32_e32 v4, v4, v8, vcc
.LBB33_129:
	s_or_b64 exec, exec, s[0:1]
	v_cmp_gt_u32_e32 vcc, 60, v6
	s_waitcnt lgkmcnt(0)
	v_cndmask_b32_e64 v8, 0, 4, vcc
	v_add_lshl_u32 v8, v8, v5, 2
	ds_bpermute_b32 v11, v8, v1
	ds_bpermute_b32 v10, v8, v2
	ds_bpermute_b32 v9, v8, v3
	ds_bpermute_b32 v8, v8, v4
	v_add_u32_e32 v12, 4, v6
	v_cmp_lt_u32_e32 vcc, v12, v7
	s_and_saveexec_b64 s[0:1], vcc
	;; [unrolled: 27-line block ×4, first 2 shown]
	s_cbranch_execz .LBB33_135
; %bb.134:
	s_waitcnt lgkmcnt(3)
	v_cmp_gt_f32_e32 vcc, v1, v11
	v_cndmask_b32_e32 v1, v1, v11, vcc
	s_waitcnt lgkmcnt(2)
	v_cmp_gt_f32_e32 vcc, v2, v10
	v_cndmask_b32_e32 v2, v2, v10, vcc
	s_waitcnt lgkmcnt(1)
	v_cmp_lt_f32_e32 vcc, v3, v9
	v_cndmask_b32_e32 v3, v3, v9, vcc
	s_waitcnt lgkmcnt(0)
	v_cmp_lt_f32_e32 vcc, v4, v8
	v_cndmask_b32_e32 v4, v4, v8, vcc
.LBB33_135:
	s_or_b64 exec, exec, s[0:1]
	s_waitcnt lgkmcnt(0)
	v_lshlrev_b32_e32 v8, 2, v5
	v_or_b32_e32 v9, 0x80, v8
	ds_bpermute_b32 v12, v9, v1
	ds_bpermute_b32 v11, v9, v2
	;; [unrolled: 1-line block ×4, first 2 shown]
	v_add_u32_e32 v6, 32, v6
	v_cmp_lt_u32_e32 vcc, v6, v7
	s_and_saveexec_b64 s[0:1], vcc
	s_cbranch_execz .LBB33_137
; %bb.136:
	s_waitcnt lgkmcnt(3)
	v_cmp_gt_f32_e32 vcc, v1, v12
	v_cndmask_b32_e32 v1, v1, v12, vcc
	s_waitcnt lgkmcnt(2)
	v_cmp_gt_f32_e32 vcc, v2, v11
	v_cndmask_b32_e32 v2, v2, v11, vcc
	s_waitcnt lgkmcnt(1)
	v_cmp_lt_f32_e32 vcc, v3, v10
	v_cndmask_b32_e32 v3, v3, v10, vcc
	s_waitcnt lgkmcnt(0)
	v_cmp_lt_f32_e32 vcc, v4, v9
	v_cndmask_b32_e32 v4, v4, v9, vcc
.LBB33_137:
	s_or_b64 exec, exec, s[0:1]
	v_cmp_eq_u32_e32 vcc, 0, v5
	s_and_saveexec_b64 s[0:1], vcc
; %bb.138:
	v_lshrrev_b32_e32 v6, 2, v0
	v_and_b32_e32 v6, 48, v6
	ds_write2_b64 v6, v[1:2], v[3:4] offset1:1
; %bb.139:
	s_or_b64 exec, exec, s[0:1]
	v_cmp_gt_u32_e32 vcc, 4, v0
	s_waitcnt lgkmcnt(0)
	s_barrier
	s_and_saveexec_b64 s[0:1], vcc
	s_cbranch_execz .LBB33_145
; %bb.140:
	v_lshlrev_b32_e32 v1, 4, v5
	ds_read2_b64 v[1:4], v1 offset1:1
	v_and_b32_e32 v6, 3, v5
	v_cmp_ne_u32_e32 vcc, 3, v6
	v_addc_co_u32_e32 v5, vcc, 0, v5, vcc
	v_lshlrev_b32_e32 v5, 2, v5
	s_waitcnt lgkmcnt(0)
	ds_bpermute_b32 v10, v5, v1
	ds_bpermute_b32 v9, v5, v2
	ds_bpermute_b32 v7, v5, v3
	ds_bpermute_b32 v5, v5, v4
	s_add_i32 s2, s2, 63
	s_lshr_b32 s8, s2, 6
	v_add_u32_e32 v11, 1, v6
	v_cmp_gt_u32_e32 vcc, s8, v11
	s_and_saveexec_b64 s[2:3], vcc
	s_cbranch_execz .LBB33_142
; %bb.141:
	s_waitcnt lgkmcnt(3)
	v_cmp_gt_f32_e32 vcc, v1, v10
	v_cndmask_b32_e32 v1, v1, v10, vcc
	s_waitcnt lgkmcnt(2)
	v_cmp_gt_f32_e32 vcc, v2, v9
	v_cndmask_b32_e32 v2, v2, v9, vcc
	s_waitcnt lgkmcnt(1)
	v_cmp_lt_f32_e32 vcc, v3, v7
	v_cndmask_b32_e32 v3, v3, v7, vcc
	s_waitcnt lgkmcnt(0)
	v_cmp_lt_f32_e32 vcc, v4, v5
	v_cndmask_b32_e32 v4, v4, v5, vcc
.LBB33_142:
	s_or_b64 exec, exec, s[2:3]
	s_waitcnt lgkmcnt(0)
	v_or_b32_e32 v5, 8, v8
	ds_bpermute_b32 v9, v5, v1
	ds_bpermute_b32 v8, v5, v2
	;; [unrolled: 1-line block ×4, first 2 shown]
	v_add_u32_e32 v6, 2, v6
	v_cmp_gt_u32_e32 vcc, s8, v6
	s_and_saveexec_b64 s[2:3], vcc
	s_cbranch_execz .LBB33_144
; %bb.143:
	s_waitcnt lgkmcnt(3)
	v_cmp_gt_f32_e32 vcc, v1, v9
	v_cndmask_b32_e32 v1, v1, v9, vcc
	s_waitcnt lgkmcnt(2)
	v_cmp_gt_f32_e32 vcc, v2, v8
	v_cndmask_b32_e32 v2, v2, v8, vcc
	s_waitcnt lgkmcnt(1)
	v_cmp_lt_f32_e32 vcc, v3, v7
	v_cndmask_b32_e32 v3, v3, v7, vcc
	s_waitcnt lgkmcnt(0)
	v_cmp_lt_f32_e32 vcc, v4, v5
	v_cndmask_b32_e32 v4, v4, v5, vcc
.LBB33_144:
	s_or_b64 exec, exec, s[2:3]
.LBB33_145:
	s_or_b64 exec, exec, s[0:1]
.LBB33_146:
	v_cmp_eq_u32_e32 vcc, 0, v0
                                        ; implicit-def: $vgpr8
	s_and_saveexec_b64 s[0:1], vcc
	s_xor_b64 s[0:1], exec, s[0:1]
	s_cbranch_execz .LBB33_150
; %bb.147:
	s_cmp_eq_u64 s[42:43], 0
	s_waitcnt lgkmcnt(2)
	v_mov_b32_e32 v8, s39
	s_waitcnt lgkmcnt(1)
	v_mov_b32_e32 v7, s38
	v_mov_b32_e32 v6, s37
	s_waitcnt lgkmcnt(0)
	v_mov_b32_e32 v5, s36
	s_cbranch_scc1 .LBB33_149
; %bb.148:
	v_mov_b32_e32 v5, s36
	v_cmp_gt_f32_e32 vcc, s36, v1
	v_cndmask_b32_e32 v5, v5, v1, vcc
	v_mov_b32_e32 v1, s37
	v_cmp_gt_f32_e32 vcc, s37, v2
	v_cndmask_b32_e32 v6, v1, v2, vcc
	v_mov_b32_e32 v1, s38
	v_cmp_lt_f32_e32 vcc, s38, v3
	v_cndmask_b32_e32 v7, v1, v3, vcc
	v_mov_b32_e32 v1, s39
	v_cmp_lt_f32_e32 vcc, s39, v4
	v_cndmask_b32_e32 v8, v1, v4, vcc
.LBB33_149:
	s_or_b64 s[16:17], s[16:17], exec
.LBB33_150:
	s_or_b64 exec, exec, s[0:1]
	s_branch .LBB33_159
.LBB33_151:
	s_cmp_eq_u32 s33, 4
	s_cbranch_scc0 .LBB33_158
; %bb.152:
	s_mov_b32 s7, 0
	s_lshl_b32 s0, s6, 10
	s_mov_b32 s1, s7
	s_lshr_b64 s[2:3], s[42:43], 10
	s_lshl_b64 s[8:9], s[0:1], 3
	s_add_u32 s8, s40, s8
	s_addc_u32 s9, s41, s9
	s_cmp_lg_u64 s[2:3], s[6:7]
	s_cbranch_scc0 .LBB33_160
; %bb.153:
	s_waitcnt lgkmcnt(0)
	v_lshlrev_b32_e32 v5, 3, v0
	global_load_dwordx2 v[1:2], v5, s[8:9]
	global_load_dwordx2 v[3:4], v5, s[8:9] offset:2048
	v_mov_b32_e32 v6, s9
	v_add_co_u32_e32 v5, vcc, s8, v5
	v_addc_co_u32_e32 v6, vcc, 0, v6, vcc
	v_add_co_u32_e32 v5, vcc, 0x1000, v5
	v_addc_co_u32_e32 v6, vcc, 0, v6, vcc
	global_load_dwordx2 v[7:8], v[5:6], off
	global_load_dwordx2 v[9:10], v[5:6], off offset:2048
	v_mbcnt_lo_u32_b32 v5, -1, 0
	v_mbcnt_hi_u32_b32 v5, -1, v5
	s_waitcnt vmcnt(2)
	v_cmp_lt_f32_e32 vcc, v3, v1
	v_cndmask_b32_e32 v6, v1, v3, vcc
	v_cmp_lt_f32_e32 vcc, v4, v2
	v_cndmask_b32_e32 v11, v2, v4, vcc
	;; [unrolled: 2-line block ×4, first 2 shown]
	s_waitcnt vmcnt(1)
	v_cmp_lt_f32_e32 vcc, v7, v6
	v_cndmask_b32_e32 v3, v6, v7, vcc
	v_cmp_lt_f32_e32 vcc, v8, v11
	v_cndmask_b32_e32 v4, v11, v8, vcc
	v_cmp_lt_f32_e32 vcc, v1, v7
	v_cndmask_b32_e32 v1, v1, v7, vcc
	v_cmp_lt_f32_e32 vcc, v2, v8
	v_cndmask_b32_e32 v2, v2, v8, vcc
	s_waitcnt vmcnt(0)
	v_cmp_lt_f32_e32 vcc, v9, v3
	v_cndmask_b32_e32 v3, v3, v9, vcc
	v_cmp_lt_f32_e32 vcc, v10, v4
	v_cndmask_b32_e32 v4, v4, v10, vcc
	;; [unrolled: 2-line block ×3, first 2 shown]
	v_cmp_lt_f32_e32 vcc, v2, v10
	v_mov_b32_dpp v6, v3 quad_perm:[1,0,3,2] row_mask:0xf bank_mask:0xf bound_ctrl:1
	v_cndmask_b32_e32 v2, v2, v10, vcc
	v_mov_b32_dpp v7, v4 quad_perm:[1,0,3,2] row_mask:0xf bank_mask:0xf bound_ctrl:1
	v_cmp_lt_f32_e32 vcc, v3, v6
	v_mov_b32_dpp v8, v1 quad_perm:[1,0,3,2] row_mask:0xf bank_mask:0xf bound_ctrl:1
	v_cndmask_b32_e32 v3, v6, v3, vcc
	v_cmp_lt_f32_e32 vcc, v4, v7
	v_mov_b32_dpp v9, v2 quad_perm:[1,0,3,2] row_mask:0xf bank_mask:0xf bound_ctrl:1
	v_cndmask_b32_e32 v4, v7, v4, vcc
	v_cmp_gt_f32_e32 vcc, v1, v8
	v_cndmask_b32_e32 v1, v8, v1, vcc
	v_cmp_gt_f32_e32 vcc, v2, v9
	v_mov_b32_dpp v6, v3 quad_perm:[2,3,0,1] row_mask:0xf bank_mask:0xf bound_ctrl:1
	v_cndmask_b32_e32 v2, v9, v2, vcc
	v_mov_b32_dpp v7, v4 quad_perm:[2,3,0,1] row_mask:0xf bank_mask:0xf bound_ctrl:1
	v_cmp_lt_f32_e32 vcc, v3, v6
	v_mov_b32_dpp v8, v1 quad_perm:[2,3,0,1] row_mask:0xf bank_mask:0xf bound_ctrl:1
	v_cndmask_b32_e32 v3, v6, v3, vcc
	v_cmp_lt_f32_e32 vcc, v4, v7
	v_mov_b32_dpp v9, v2 quad_perm:[2,3,0,1] row_mask:0xf bank_mask:0xf bound_ctrl:1
	v_cndmask_b32_e32 v4, v7, v4, vcc
	v_cmp_gt_f32_e32 vcc, v1, v8
	v_cndmask_b32_e32 v1, v8, v1, vcc
	v_cmp_gt_f32_e32 vcc, v2, v9
	v_mov_b32_dpp v6, v3 row_ror:4 row_mask:0xf bank_mask:0xf bound_ctrl:1
	v_cndmask_b32_e32 v2, v9, v2, vcc
	v_mov_b32_dpp v7, v4 row_ror:4 row_mask:0xf bank_mask:0xf bound_ctrl:1
	v_cmp_lt_f32_e32 vcc, v3, v6
	v_mov_b32_dpp v8, v1 row_ror:4 row_mask:0xf bank_mask:0xf bound_ctrl:1
	v_cndmask_b32_e32 v3, v6, v3, vcc
	v_cmp_lt_f32_e32 vcc, v4, v7
	v_mov_b32_dpp v9, v2 row_ror:4 row_mask:0xf bank_mask:0xf bound_ctrl:1
	v_cndmask_b32_e32 v4, v7, v4, vcc
	v_cmp_gt_f32_e32 vcc, v1, v8
	v_cndmask_b32_e32 v1, v8, v1, vcc
	v_cmp_gt_f32_e32 vcc, v2, v9
	v_mov_b32_dpp v6, v3 row_ror:8 row_mask:0xf bank_mask:0xf bound_ctrl:1
	v_cndmask_b32_e32 v2, v9, v2, vcc
	v_mov_b32_dpp v7, v4 row_ror:8 row_mask:0xf bank_mask:0xf bound_ctrl:1
	v_cmp_lt_f32_e32 vcc, v3, v6
	v_mov_b32_dpp v8, v1 row_ror:8 row_mask:0xf bank_mask:0xf bound_ctrl:1
	v_cndmask_b32_e32 v3, v6, v3, vcc
	v_cmp_lt_f32_e32 vcc, v4, v7
	v_mov_b32_dpp v9, v2 row_ror:8 row_mask:0xf bank_mask:0xf bound_ctrl:1
	v_cndmask_b32_e32 v4, v7, v4, vcc
	v_cmp_gt_f32_e32 vcc, v1, v8
	v_cndmask_b32_e32 v1, v8, v1, vcc
	v_cmp_gt_f32_e32 vcc, v2, v9
	v_mov_b32_dpp v6, v3 row_bcast:15 row_mask:0xf bank_mask:0xf bound_ctrl:1
	v_cndmask_b32_e32 v2, v9, v2, vcc
	v_mov_b32_dpp v7, v4 row_bcast:15 row_mask:0xf bank_mask:0xf bound_ctrl:1
	v_cmp_lt_f32_e32 vcc, v3, v6
	v_mov_b32_dpp v8, v1 row_bcast:15 row_mask:0xf bank_mask:0xf bound_ctrl:1
	v_cndmask_b32_e32 v3, v6, v3, vcc
	v_cmp_lt_f32_e32 vcc, v4, v7
	v_mov_b32_dpp v9, v2 row_bcast:15 row_mask:0xf bank_mask:0xf bound_ctrl:1
	v_cndmask_b32_e32 v4, v7, v4, vcc
	v_cmp_gt_f32_e32 vcc, v1, v8
	v_cndmask_b32_e32 v1, v8, v1, vcc
	v_cmp_gt_f32_e32 vcc, v2, v9
	v_mov_b32_dpp v6, v3 row_bcast:31 row_mask:0xf bank_mask:0xf bound_ctrl:1
	v_cndmask_b32_e32 v2, v9, v2, vcc
	v_mov_b32_dpp v7, v4 row_bcast:31 row_mask:0xf bank_mask:0xf bound_ctrl:1
	v_cmp_lt_f32_e32 vcc, v3, v6
	v_mov_b32_dpp v8, v1 row_bcast:31 row_mask:0xf bank_mask:0xf bound_ctrl:1
	v_cndmask_b32_e32 v3, v6, v3, vcc
	v_cmp_lt_f32_e32 vcc, v4, v7
	v_mov_b32_dpp v9, v2 row_bcast:31 row_mask:0xf bank_mask:0xf bound_ctrl:1
	v_cndmask_b32_e32 v4, v7, v4, vcc
	v_cmp_gt_f32_e32 vcc, v1, v8
	v_cndmask_b32_e32 v7, v8, v1, vcc
	v_cmp_gt_f32_e32 vcc, v2, v9
	v_lshlrev_b32_e32 v6, 2, v5
	v_cndmask_b32_e32 v8, v9, v2, vcc
	v_or_b32_e32 v9, 0xfc, v6
	ds_bpermute_b32 v1, v9, v3
	ds_bpermute_b32 v2, v9, v4
	;; [unrolled: 1-line block ×4, first 2 shown]
	v_cmp_eq_u32_e32 vcc, 0, v5
	s_and_saveexec_b64 s[2:3], vcc
	s_cbranch_execz .LBB33_155
; %bb.154:
	v_lshrrev_b32_e32 v7, 2, v0
	v_and_b32_e32 v7, 48, v7
	s_waitcnt lgkmcnt(0)
	ds_write2_b64 v7, v[1:2], v[3:4] offset0:32 offset1:33
.LBB33_155:
	s_or_b64 exec, exec, s[2:3]
	v_cmp_gt_u32_e32 vcc, 64, v0
	s_waitcnt lgkmcnt(0)
	s_barrier
	s_and_saveexec_b64 s[2:3], vcc
	s_cbranch_execz .LBB33_157
; %bb.156:
	v_and_b32_e32 v7, 3, v5
	v_lshlrev_b32_e32 v1, 4, v7
	ds_read2_b64 v[1:4], v1 offset0:32 offset1:33
	v_cmp_ne_u32_e32 vcc, 3, v7
	v_addc_co_u32_e32 v5, vcc, 0, v5, vcc
	v_lshlrev_b32_e32 v5, 2, v5
	s_waitcnt lgkmcnt(0)
	ds_bpermute_b32 v7, v5, v1
	ds_bpermute_b32 v8, v5, v2
	;; [unrolled: 1-line block ×4, first 2 shown]
	v_or_b32_e32 v6, 8, v6
	s_waitcnt lgkmcnt(3)
	v_cmp_gt_f32_e32 vcc, v1, v7
	v_cndmask_b32_e32 v1, v1, v7, vcc
	s_waitcnt lgkmcnt(2)
	v_cmp_gt_f32_e32 vcc, v2, v8
	v_cndmask_b32_e32 v2, v2, v8, vcc
	s_waitcnt lgkmcnt(1)
	v_cmp_lt_f32_e32 vcc, v3, v9
	v_cndmask_b32_e32 v3, v3, v9, vcc
	ds_bpermute_b32 v7, v6, v1
	s_waitcnt lgkmcnt(1)
	v_cmp_lt_f32_e32 vcc, v4, v5
	v_cndmask_b32_e32 v4, v4, v5, vcc
	ds_bpermute_b32 v5, v6, v2
	ds_bpermute_b32 v8, v6, v3
	;; [unrolled: 1-line block ×3, first 2 shown]
	s_waitcnt lgkmcnt(3)
	v_cmp_gt_f32_e32 vcc, v1, v7
	v_cndmask_b32_e32 v1, v1, v7, vcc
	s_waitcnt lgkmcnt(2)
	v_cmp_gt_f32_e32 vcc, v2, v5
	v_cndmask_b32_e32 v2, v2, v5, vcc
	s_waitcnt lgkmcnt(1)
	v_cmp_lt_f32_e32 vcc, v3, v8
	v_cndmask_b32_e32 v3, v3, v8, vcc
	s_waitcnt lgkmcnt(0)
	v_cmp_lt_f32_e32 vcc, v4, v6
	v_cndmask_b32_e32 v4, v4, v6, vcc
.LBB33_157:
	s_or_b64 exec, exec, s[2:3]
	s_branch .LBB33_194
.LBB33_158:
                                        ; implicit-def: $vgpr8
.LBB33_159:
	s_branch .LBB33_248
.LBB33_160:
                                        ; implicit-def: $vgpr4
	s_cbranch_execz .LBB33_194
; %bb.161:
	s_sub_i32 s12, s42, s0
	v_cmp_gt_u32_e32 vcc, s12, v0
	s_waitcnt lgkmcnt(2)
	v_mov_b32_e32 v8, 0
	v_mov_b32_e32 v2, 0
	;; [unrolled: 1-line block ×3, first 2 shown]
	s_and_saveexec_b64 s[0:1], vcc
	s_cbranch_execz .LBB33_163
; %bb.162:
	v_lshlrev_b32_e32 v1, 3, v0
	global_load_dwordx2 v[1:2], v1, s[8:9]
.LBB33_163:
	s_or_b64 exec, exec, s[0:1]
	v_or_b32_e32 v3, 0x100, v0
	v_cmp_gt_u32_e64 s[2:3], s12, v3
	s_waitcnt lgkmcnt(1)
	v_mov_b32_e32 v7, 0
	s_and_saveexec_b64 s[0:1], s[2:3]
	s_cbranch_execz .LBB33_165
; %bb.164:
	v_lshlrev_b32_e32 v3, 3, v0
	global_load_dwordx2 v[7:8], v3, s[8:9] offset:2048
.LBB33_165:
	s_or_b64 exec, exec, s[0:1]
	v_or_b32_e32 v3, 0x200, v0
	v_cmp_gt_u32_e64 s[0:1], s12, v3
	v_mov_b32_e32 v6, 0
	v_mov_b32_e32 v10, 0
	;; [unrolled: 1-line block ×3, first 2 shown]
	s_and_saveexec_b64 s[10:11], s[0:1]
	s_cbranch_execz .LBB33_167
; %bb.166:
	v_lshlrev_b32_e32 v3, 3, v3
	global_load_dwordx2 v[9:10], v3, s[8:9]
.LBB33_167:
	s_or_b64 exec, exec, s[10:11]
	v_or_b32_e32 v3, 0x300, v0
	v_cmp_gt_u32_e32 vcc, s12, v3
	s_waitcnt lgkmcnt(0)
	v_mov_b32_e32 v5, 0
	s_and_saveexec_b64 s[10:11], vcc
	s_cbranch_execz .LBB33_169
; %bb.168:
	v_lshlrev_b32_e32 v3, 3, v3
	global_load_dwordx2 v[5:6], v3, s[8:9]
.LBB33_169:
	s_or_b64 exec, exec, s[10:11]
	s_waitcnt vmcnt(0)
	v_mov_b32_e32 v3, v1
	v_mov_b32_e32 v4, v2
	s_and_saveexec_b64 s[8:9], s[2:3]
	s_cbranch_execnz .LBB33_280
; %bb.170:
	s_or_b64 exec, exec, s[8:9]
	s_and_saveexec_b64 s[2:3], s[0:1]
	s_cbranch_execnz .LBB33_281
.LBB33_171:
	s_or_b64 exec, exec, s[2:3]
	s_and_saveexec_b64 s[0:1], vcc
.LBB33_172:
	v_cmp_lt_f32_e32 vcc, v5, v1
	v_cndmask_b32_e32 v1, v1, v5, vcc
	v_cmp_lt_f32_e32 vcc, v6, v2
	v_cndmask_b32_e32 v2, v2, v6, vcc
	;; [unrolled: 2-line block ×4, first 2 shown]
.LBB33_173:
	s_or_b64 exec, exec, s[0:1]
	v_mbcnt_lo_u32_b32 v5, -1, 0
	v_mbcnt_hi_u32_b32 v5, -1, v5
	v_and_b32_e32 v6, 63, v5
	v_cmp_ne_u32_e32 vcc, 63, v6
	v_addc_co_u32_e32 v7, vcc, 0, v5, vcc
	v_lshlrev_b32_e32 v7, 2, v7
	ds_bpermute_b32 v11, v7, v1
	ds_bpermute_b32 v10, v7, v2
	;; [unrolled: 1-line block ×4, first 2 shown]
	s_min_u32 s2, s12, 0x100
	v_and_b32_e32 v7, 0xc0, v0
	v_sub_u32_e64 v7, s2, v7 clamp
	v_add_u32_e32 v12, 1, v6
	v_cmp_lt_u32_e32 vcc, v12, v7
	s_and_saveexec_b64 s[0:1], vcc
	s_xor_b64 s[0:1], exec, s[0:1]
	s_cbranch_execz .LBB33_175
; %bb.174:
	s_waitcnt lgkmcnt(3)
	v_cmp_gt_f32_e32 vcc, v1, v11
	v_cndmask_b32_e32 v1, v1, v11, vcc
	s_waitcnt lgkmcnt(2)
	v_cmp_gt_f32_e32 vcc, v2, v10
	v_cndmask_b32_e32 v2, v2, v10, vcc
	s_waitcnt lgkmcnt(1)
	v_cmp_lt_f32_e32 vcc, v3, v9
	v_cndmask_b32_e32 v3, v3, v9, vcc
	s_waitcnt lgkmcnt(0)
	v_cmp_lt_f32_e32 vcc, v4, v8
	v_cndmask_b32_e32 v4, v4, v8, vcc
.LBB33_175:
	s_or_b64 exec, exec, s[0:1]
	v_cmp_gt_u32_e32 vcc, 62, v6
	s_waitcnt lgkmcnt(0)
	v_cndmask_b32_e64 v8, 0, 2, vcc
	v_add_lshl_u32 v8, v8, v5, 2
	ds_bpermute_b32 v11, v8, v1
	ds_bpermute_b32 v10, v8, v2
	ds_bpermute_b32 v9, v8, v3
	ds_bpermute_b32 v8, v8, v4
	v_add_u32_e32 v12, 2, v6
	v_cmp_lt_u32_e32 vcc, v12, v7
	s_and_saveexec_b64 s[0:1], vcc
	s_cbranch_execz .LBB33_177
; %bb.176:
	s_waitcnt lgkmcnt(3)
	v_cmp_gt_f32_e32 vcc, v1, v11
	v_cndmask_b32_e32 v1, v1, v11, vcc
	s_waitcnt lgkmcnt(2)
	v_cmp_gt_f32_e32 vcc, v2, v10
	v_cndmask_b32_e32 v2, v2, v10, vcc
	s_waitcnt lgkmcnt(1)
	v_cmp_lt_f32_e32 vcc, v3, v9
	v_cndmask_b32_e32 v3, v3, v9, vcc
	s_waitcnt lgkmcnt(0)
	v_cmp_lt_f32_e32 vcc, v4, v8
	v_cndmask_b32_e32 v4, v4, v8, vcc
.LBB33_177:
	s_or_b64 exec, exec, s[0:1]
	v_cmp_gt_u32_e32 vcc, 60, v6
	s_waitcnt lgkmcnt(0)
	v_cndmask_b32_e64 v8, 0, 4, vcc
	v_add_lshl_u32 v8, v8, v5, 2
	ds_bpermute_b32 v11, v8, v1
	ds_bpermute_b32 v10, v8, v2
	ds_bpermute_b32 v9, v8, v3
	ds_bpermute_b32 v8, v8, v4
	v_add_u32_e32 v12, 4, v6
	v_cmp_lt_u32_e32 vcc, v12, v7
	s_and_saveexec_b64 s[0:1], vcc
	s_cbranch_execz .LBB33_179
; %bb.178:
	s_waitcnt lgkmcnt(3)
	v_cmp_gt_f32_e32 vcc, v1, v11
	v_cndmask_b32_e32 v1, v1, v11, vcc
	s_waitcnt lgkmcnt(2)
	v_cmp_gt_f32_e32 vcc, v2, v10
	v_cndmask_b32_e32 v2, v2, v10, vcc
	s_waitcnt lgkmcnt(1)
	v_cmp_lt_f32_e32 vcc, v3, v9
	v_cndmask_b32_e32 v3, v3, v9, vcc
	s_waitcnt lgkmcnt(0)
	v_cmp_lt_f32_e32 vcc, v4, v8
	v_cndmask_b32_e32 v4, v4, v8, vcc
.LBB33_179:
	s_or_b64 exec, exec, s[0:1]
	v_cmp_gt_u32_e32 vcc, 56, v6
	s_waitcnt lgkmcnt(0)
	v_cndmask_b32_e64 v8, 0, 8, vcc
	v_add_lshl_u32 v8, v8, v5, 2
	ds_bpermute_b32 v11, v8, v1
	ds_bpermute_b32 v10, v8, v2
	ds_bpermute_b32 v9, v8, v3
	ds_bpermute_b32 v8, v8, v4
	v_add_u32_e32 v12, 8, v6
	v_cmp_lt_u32_e32 vcc, v12, v7
	s_and_saveexec_b64 s[0:1], vcc
	s_cbranch_execz .LBB33_181
; %bb.180:
	s_waitcnt lgkmcnt(3)
	v_cmp_gt_f32_e32 vcc, v1, v11
	v_cndmask_b32_e32 v1, v1, v11, vcc
	s_waitcnt lgkmcnt(2)
	v_cmp_gt_f32_e32 vcc, v2, v10
	v_cndmask_b32_e32 v2, v2, v10, vcc
	s_waitcnt lgkmcnt(1)
	v_cmp_lt_f32_e32 vcc, v3, v9
	v_cndmask_b32_e32 v3, v3, v9, vcc
	s_waitcnt lgkmcnt(0)
	v_cmp_lt_f32_e32 vcc, v4, v8
	v_cndmask_b32_e32 v4, v4, v8, vcc
.LBB33_181:
	s_or_b64 exec, exec, s[0:1]
	v_cmp_gt_u32_e32 vcc, 48, v6
	s_waitcnt lgkmcnt(0)
	v_cndmask_b32_e64 v8, 0, 16, vcc
	v_add_lshl_u32 v8, v8, v5, 2
	ds_bpermute_b32 v11, v8, v1
	ds_bpermute_b32 v10, v8, v2
	ds_bpermute_b32 v9, v8, v3
	ds_bpermute_b32 v8, v8, v4
	v_add_u32_e32 v12, 16, v6
	v_cmp_lt_u32_e32 vcc, v12, v7
	s_and_saveexec_b64 s[0:1], vcc
	s_cbranch_execz .LBB33_183
; %bb.182:
	s_waitcnt lgkmcnt(3)
	v_cmp_gt_f32_e32 vcc, v1, v11
	v_cndmask_b32_e32 v1, v1, v11, vcc
	s_waitcnt lgkmcnt(2)
	v_cmp_gt_f32_e32 vcc, v2, v10
	v_cndmask_b32_e32 v2, v2, v10, vcc
	s_waitcnt lgkmcnt(1)
	v_cmp_lt_f32_e32 vcc, v3, v9
	v_cndmask_b32_e32 v3, v3, v9, vcc
	s_waitcnt lgkmcnt(0)
	v_cmp_lt_f32_e32 vcc, v4, v8
	v_cndmask_b32_e32 v4, v4, v8, vcc
.LBB33_183:
	s_or_b64 exec, exec, s[0:1]
	s_waitcnt lgkmcnt(0)
	v_lshlrev_b32_e32 v8, 2, v5
	v_or_b32_e32 v9, 0x80, v8
	ds_bpermute_b32 v12, v9, v1
	ds_bpermute_b32 v11, v9, v2
	;; [unrolled: 1-line block ×4, first 2 shown]
	v_add_u32_e32 v6, 32, v6
	v_cmp_lt_u32_e32 vcc, v6, v7
	s_and_saveexec_b64 s[0:1], vcc
	s_cbranch_execz .LBB33_185
; %bb.184:
	s_waitcnt lgkmcnt(3)
	v_cmp_gt_f32_e32 vcc, v1, v12
	v_cndmask_b32_e32 v1, v1, v12, vcc
	s_waitcnt lgkmcnt(2)
	v_cmp_gt_f32_e32 vcc, v2, v11
	v_cndmask_b32_e32 v2, v2, v11, vcc
	s_waitcnt lgkmcnt(1)
	v_cmp_lt_f32_e32 vcc, v3, v10
	v_cndmask_b32_e32 v3, v3, v10, vcc
	s_waitcnt lgkmcnt(0)
	v_cmp_lt_f32_e32 vcc, v4, v9
	v_cndmask_b32_e32 v4, v4, v9, vcc
.LBB33_185:
	s_or_b64 exec, exec, s[0:1]
	v_cmp_eq_u32_e32 vcc, 0, v5
	s_and_saveexec_b64 s[0:1], vcc
; %bb.186:
	v_lshrrev_b32_e32 v6, 2, v0
	v_and_b32_e32 v6, 48, v6
	ds_write2_b64 v6, v[1:2], v[3:4] offset1:1
; %bb.187:
	s_or_b64 exec, exec, s[0:1]
	v_cmp_gt_u32_e32 vcc, 4, v0
	s_waitcnt lgkmcnt(0)
	s_barrier
	s_and_saveexec_b64 s[0:1], vcc
	s_cbranch_execz .LBB33_193
; %bb.188:
	v_lshlrev_b32_e32 v1, 4, v5
	ds_read2_b64 v[1:4], v1 offset1:1
	v_and_b32_e32 v6, 3, v5
	v_cmp_ne_u32_e32 vcc, 3, v6
	v_addc_co_u32_e32 v5, vcc, 0, v5, vcc
	v_lshlrev_b32_e32 v5, 2, v5
	s_waitcnt lgkmcnt(0)
	ds_bpermute_b32 v10, v5, v1
	ds_bpermute_b32 v9, v5, v2
	;; [unrolled: 1-line block ×4, first 2 shown]
	s_add_i32 s2, s2, 63
	s_lshr_b32 s8, s2, 6
	v_add_u32_e32 v11, 1, v6
	v_cmp_gt_u32_e32 vcc, s8, v11
	s_and_saveexec_b64 s[2:3], vcc
	s_cbranch_execz .LBB33_190
; %bb.189:
	s_waitcnt lgkmcnt(3)
	v_cmp_gt_f32_e32 vcc, v1, v10
	v_cndmask_b32_e32 v1, v1, v10, vcc
	s_waitcnt lgkmcnt(2)
	v_cmp_gt_f32_e32 vcc, v2, v9
	v_cndmask_b32_e32 v2, v2, v9, vcc
	s_waitcnt lgkmcnt(1)
	v_cmp_lt_f32_e32 vcc, v3, v7
	v_cndmask_b32_e32 v3, v3, v7, vcc
	s_waitcnt lgkmcnt(0)
	v_cmp_lt_f32_e32 vcc, v4, v5
	v_cndmask_b32_e32 v4, v4, v5, vcc
.LBB33_190:
	s_or_b64 exec, exec, s[2:3]
	s_waitcnt lgkmcnt(0)
	v_or_b32_e32 v5, 8, v8
	ds_bpermute_b32 v9, v5, v1
	ds_bpermute_b32 v8, v5, v2
	;; [unrolled: 1-line block ×4, first 2 shown]
	v_add_u32_e32 v6, 2, v6
	v_cmp_gt_u32_e32 vcc, s8, v6
	s_and_saveexec_b64 s[2:3], vcc
	s_cbranch_execz .LBB33_192
; %bb.191:
	s_waitcnt lgkmcnt(3)
	v_cmp_gt_f32_e32 vcc, v1, v9
	v_cndmask_b32_e32 v1, v1, v9, vcc
	s_waitcnt lgkmcnt(2)
	v_cmp_gt_f32_e32 vcc, v2, v8
	v_cndmask_b32_e32 v2, v2, v8, vcc
	s_waitcnt lgkmcnt(1)
	v_cmp_lt_f32_e32 vcc, v3, v7
	v_cndmask_b32_e32 v3, v3, v7, vcc
	s_waitcnt lgkmcnt(0)
	v_cmp_lt_f32_e32 vcc, v4, v5
	v_cndmask_b32_e32 v4, v4, v5, vcc
.LBB33_192:
	s_or_b64 exec, exec, s[2:3]
.LBB33_193:
	s_or_b64 exec, exec, s[0:1]
.LBB33_194:
	v_cmp_eq_u32_e32 vcc, 0, v0
                                        ; implicit-def: $vgpr8
	s_and_saveexec_b64 s[0:1], vcc
	s_xor_b64 s[0:1], exec, s[0:1]
	s_cbranch_execz .LBB33_198
; %bb.195:
	s_cmp_eq_u64 s[42:43], 0
	s_waitcnt lgkmcnt(2)
	v_mov_b32_e32 v8, s39
	s_waitcnt lgkmcnt(1)
	v_mov_b32_e32 v7, s38
	v_mov_b32_e32 v6, s37
	s_waitcnt lgkmcnt(0)
	v_mov_b32_e32 v5, s36
	s_cbranch_scc1 .LBB33_197
; %bb.196:
	v_mov_b32_e32 v5, s36
	v_cmp_gt_f32_e32 vcc, s36, v1
	v_cndmask_b32_e32 v5, v5, v1, vcc
	v_mov_b32_e32 v1, s37
	v_cmp_gt_f32_e32 vcc, s37, v2
	v_cndmask_b32_e32 v6, v1, v2, vcc
	v_mov_b32_e32 v1, s38
	v_cmp_lt_f32_e32 vcc, s38, v3
	v_cndmask_b32_e32 v7, v1, v3, vcc
	v_mov_b32_e32 v1, s39
	v_cmp_lt_f32_e32 vcc, s39, v4
	v_cndmask_b32_e32 v8, v1, v4, vcc
.LBB33_197:
	s_or_b64 s[16:17], s[16:17], exec
.LBB33_198:
	s_or_b64 exec, exec, s[0:1]
	s_branch .LBB33_248
.LBB33_199:
	s_cmp_gt_i32 s33, 1
	s_cbranch_scc0 .LBB33_207
; %bb.200:
	s_cmp_eq_u32 s33, 2
	s_cbranch_scc0 .LBB33_208
; %bb.201:
	s_mov_b32 s7, 0
	s_lshl_b32 s2, s6, 9
	s_mov_b32 s3, s7
	s_lshr_b64 s[8:9], s[42:43], 9
	s_lshl_b64 s[0:1], s[2:3], 3
	s_add_u32 s0, s40, s0
	s_addc_u32 s1, s41, s1
	s_cmp_lg_u64 s[8:9], s[6:7]
	s_cbranch_scc0 .LBB33_209
; %bb.202:
	s_waitcnt lgkmcnt(0)
	v_lshlrev_b32_e32 v5, 3, v0
	global_load_dwordx2 v[1:2], v5, s[0:1]
	global_load_dwordx2 v[3:4], v5, s[0:1] offset:2048
	v_mbcnt_lo_u32_b32 v5, -1, 0
	v_mbcnt_hi_u32_b32 v5, -1, v5
	v_lshlrev_b32_e32 v6, 2, v5
	v_or_b32_e32 v7, 0xfc, v6
	s_waitcnt vmcnt(0)
	v_cmp_lt_f32_e32 vcc, v3, v1
	v_cndmask_b32_e32 v8, v1, v3, vcc
	v_cmp_lt_f32_e32 vcc, v4, v2
	v_cndmask_b32_e32 v9, v2, v4, vcc
	;; [unrolled: 2-line block ×3, first 2 shown]
	v_cmp_lt_f32_e32 vcc, v2, v4
	v_mov_b32_dpp v3, v8 quad_perm:[1,0,3,2] row_mask:0xf bank_mask:0xf bound_ctrl:1
	v_cndmask_b32_e32 v2, v2, v4, vcc
	v_mov_b32_dpp v4, v9 quad_perm:[1,0,3,2] row_mask:0xf bank_mask:0xf bound_ctrl:1
	v_cmp_lt_f32_e32 vcc, v8, v3
	v_mov_b32_dpp v10, v1 quad_perm:[1,0,3,2] row_mask:0xf bank_mask:0xf bound_ctrl:1
	v_cndmask_b32_e32 v3, v3, v8, vcc
	v_cmp_lt_f32_e32 vcc, v9, v4
	v_mov_b32_dpp v11, v2 quad_perm:[1,0,3,2] row_mask:0xf bank_mask:0xf bound_ctrl:1
	v_cndmask_b32_e32 v4, v4, v9, vcc
	v_cmp_gt_f32_e32 vcc, v1, v10
	v_cndmask_b32_e32 v1, v10, v1, vcc
	v_cmp_gt_f32_e32 vcc, v2, v11
	v_mov_b32_dpp v8, v3 quad_perm:[2,3,0,1] row_mask:0xf bank_mask:0xf bound_ctrl:1
	v_cndmask_b32_e32 v2, v11, v2, vcc
	v_mov_b32_dpp v9, v4 quad_perm:[2,3,0,1] row_mask:0xf bank_mask:0xf bound_ctrl:1
	v_cmp_lt_f32_e32 vcc, v3, v8
	v_mov_b32_dpp v10, v1 quad_perm:[2,3,0,1] row_mask:0xf bank_mask:0xf bound_ctrl:1
	v_cndmask_b32_e32 v3, v8, v3, vcc
	v_cmp_lt_f32_e32 vcc, v4, v9
	v_mov_b32_dpp v11, v2 quad_perm:[2,3,0,1] row_mask:0xf bank_mask:0xf bound_ctrl:1
	v_cndmask_b32_e32 v4, v9, v4, vcc
	v_cmp_gt_f32_e32 vcc, v1, v10
	v_cndmask_b32_e32 v1, v10, v1, vcc
	v_cmp_gt_f32_e32 vcc, v2, v11
	v_mov_b32_dpp v8, v3 row_ror:4 row_mask:0xf bank_mask:0xf bound_ctrl:1
	v_cndmask_b32_e32 v2, v11, v2, vcc
	v_mov_b32_dpp v9, v4 row_ror:4 row_mask:0xf bank_mask:0xf bound_ctrl:1
	v_cmp_lt_f32_e32 vcc, v3, v8
	v_mov_b32_dpp v10, v1 row_ror:4 row_mask:0xf bank_mask:0xf bound_ctrl:1
	v_cndmask_b32_e32 v3, v8, v3, vcc
	v_cmp_lt_f32_e32 vcc, v4, v9
	v_mov_b32_dpp v11, v2 row_ror:4 row_mask:0xf bank_mask:0xf bound_ctrl:1
	v_cndmask_b32_e32 v4, v9, v4, vcc
	v_cmp_gt_f32_e32 vcc, v1, v10
	v_cndmask_b32_e32 v1, v10, v1, vcc
	v_cmp_gt_f32_e32 vcc, v2, v11
	v_mov_b32_dpp v8, v3 row_ror:8 row_mask:0xf bank_mask:0xf bound_ctrl:1
	v_cndmask_b32_e32 v2, v11, v2, vcc
	v_mov_b32_dpp v9, v4 row_ror:8 row_mask:0xf bank_mask:0xf bound_ctrl:1
	v_cmp_lt_f32_e32 vcc, v3, v8
	v_mov_b32_dpp v10, v1 row_ror:8 row_mask:0xf bank_mask:0xf bound_ctrl:1
	v_cndmask_b32_e32 v3, v8, v3, vcc
	v_cmp_lt_f32_e32 vcc, v4, v9
	v_mov_b32_dpp v11, v2 row_ror:8 row_mask:0xf bank_mask:0xf bound_ctrl:1
	v_cndmask_b32_e32 v4, v9, v4, vcc
	v_cmp_gt_f32_e32 vcc, v1, v10
	v_cndmask_b32_e32 v1, v10, v1, vcc
	v_cmp_gt_f32_e32 vcc, v2, v11
	v_mov_b32_dpp v8, v3 row_bcast:15 row_mask:0xf bank_mask:0xf bound_ctrl:1
	v_cndmask_b32_e32 v2, v11, v2, vcc
	v_mov_b32_dpp v9, v4 row_bcast:15 row_mask:0xf bank_mask:0xf bound_ctrl:1
	v_cmp_lt_f32_e32 vcc, v3, v8
	v_mov_b32_dpp v10, v1 row_bcast:15 row_mask:0xf bank_mask:0xf bound_ctrl:1
	v_cndmask_b32_e32 v3, v8, v3, vcc
	v_cmp_lt_f32_e32 vcc, v4, v9
	v_mov_b32_dpp v11, v2 row_bcast:15 row_mask:0xf bank_mask:0xf bound_ctrl:1
	v_cndmask_b32_e32 v4, v9, v4, vcc
	v_cmp_gt_f32_e32 vcc, v1, v10
	v_cndmask_b32_e32 v1, v10, v1, vcc
	v_cmp_gt_f32_e32 vcc, v2, v11
	v_mov_b32_dpp v8, v3 row_bcast:31 row_mask:0xf bank_mask:0xf bound_ctrl:1
	v_cndmask_b32_e32 v2, v11, v2, vcc
	v_mov_b32_dpp v9, v4 row_bcast:31 row_mask:0xf bank_mask:0xf bound_ctrl:1
	v_cmp_lt_f32_e32 vcc, v3, v8
	v_mov_b32_dpp v10, v1 row_bcast:31 row_mask:0xf bank_mask:0xf bound_ctrl:1
	v_cndmask_b32_e32 v3, v8, v3, vcc
	v_cmp_lt_f32_e32 vcc, v4, v9
	v_mov_b32_dpp v11, v2 row_bcast:31 row_mask:0xf bank_mask:0xf bound_ctrl:1
	v_cndmask_b32_e32 v4, v9, v4, vcc
	v_cmp_gt_f32_e32 vcc, v1, v10
	v_cndmask_b32_e32 v8, v10, v1, vcc
	v_cmp_gt_f32_e32 vcc, v2, v11
	v_cndmask_b32_e32 v9, v11, v2, vcc
	ds_bpermute_b32 v1, v7, v3
	ds_bpermute_b32 v2, v7, v4
	;; [unrolled: 1-line block ×4, first 2 shown]
	v_cmp_eq_u32_e32 vcc, 0, v5
	s_and_saveexec_b64 s[8:9], vcc
	s_cbranch_execz .LBB33_204
; %bb.203:
	v_lshrrev_b32_e32 v7, 2, v0
	v_and_b32_e32 v7, 48, v7
	s_waitcnt lgkmcnt(0)
	ds_write2_b64 v7, v[1:2], v[3:4] offset0:24 offset1:25
.LBB33_204:
	s_or_b64 exec, exec, s[8:9]
	v_cmp_gt_u32_e32 vcc, 64, v0
	s_waitcnt lgkmcnt(0)
	s_barrier
	s_and_saveexec_b64 s[8:9], vcc
	s_cbranch_execz .LBB33_206
; %bb.205:
	v_and_b32_e32 v7, 3, v5
	v_lshlrev_b32_e32 v1, 4, v7
	ds_read2_b64 v[1:4], v1 offset0:24 offset1:25
	v_cmp_ne_u32_e32 vcc, 3, v7
	v_addc_co_u32_e32 v5, vcc, 0, v5, vcc
	v_lshlrev_b32_e32 v5, 2, v5
	s_waitcnt lgkmcnt(0)
	ds_bpermute_b32 v7, v5, v1
	ds_bpermute_b32 v8, v5, v2
	;; [unrolled: 1-line block ×4, first 2 shown]
	v_or_b32_e32 v6, 8, v6
	s_waitcnt lgkmcnt(3)
	v_cmp_gt_f32_e32 vcc, v1, v7
	v_cndmask_b32_e32 v1, v1, v7, vcc
	s_waitcnt lgkmcnt(2)
	v_cmp_gt_f32_e32 vcc, v2, v8
	v_cndmask_b32_e32 v2, v2, v8, vcc
	s_waitcnt lgkmcnt(1)
	v_cmp_lt_f32_e32 vcc, v3, v9
	v_cndmask_b32_e32 v3, v3, v9, vcc
	ds_bpermute_b32 v7, v6, v1
	s_waitcnt lgkmcnt(1)
	v_cmp_lt_f32_e32 vcc, v4, v5
	v_cndmask_b32_e32 v4, v4, v5, vcc
	ds_bpermute_b32 v5, v6, v2
	ds_bpermute_b32 v8, v6, v3
	;; [unrolled: 1-line block ×3, first 2 shown]
	s_waitcnt lgkmcnt(3)
	v_cmp_gt_f32_e32 vcc, v1, v7
	v_cndmask_b32_e32 v1, v1, v7, vcc
	s_waitcnt lgkmcnt(2)
	v_cmp_gt_f32_e32 vcc, v2, v5
	v_cndmask_b32_e32 v2, v2, v5, vcc
	s_waitcnt lgkmcnt(1)
	v_cmp_lt_f32_e32 vcc, v3, v8
	v_cndmask_b32_e32 v3, v3, v8, vcc
	s_waitcnt lgkmcnt(0)
	v_cmp_lt_f32_e32 vcc, v4, v6
	v_cndmask_b32_e32 v4, v4, v6, vcc
.LBB33_206:
	s_or_b64 exec, exec, s[8:9]
	s_branch .LBB33_235
.LBB33_207:
                                        ; implicit-def: $vgpr8
	s_cbranch_execnz .LBB33_240
	s_branch .LBB33_248
.LBB33_208:
                                        ; implicit-def: $vgpr8
	s_branch .LBB33_248
.LBB33_209:
                                        ; implicit-def: $vgpr4
	s_cbranch_execz .LBB33_235
; %bb.210:
	s_sub_i32 s8, s42, s2
	v_cmp_gt_u32_e32 vcc, s8, v0
	v_mov_b32_e32 v2, 0
	v_mov_b32_e32 v1, 0
	s_and_saveexec_b64 s[2:3], vcc
	s_cbranch_execz .LBB33_212
; %bb.211:
	v_lshlrev_b32_e32 v1, 3, v0
	global_load_dwordx2 v[1:2], v1, s[0:1]
.LBB33_212:
	s_or_b64 exec, exec, s[2:3]
	v_or_b32_e32 v3, 0x100, v0
	v_cmp_gt_u32_e32 vcc, s8, v3
	s_waitcnt vmcnt(0)
	v_mov_b32_e32 v3, v1
	v_mov_b32_e32 v4, v2
	s_and_saveexec_b64 s[2:3], vcc
	s_cbranch_execz .LBB33_214
; %bb.213:
	v_lshlrev_b32_e32 v3, 3, v0
	global_load_dwordx2 v[3:4], v3, s[0:1] offset:2048
	s_waitcnt vmcnt(0)
	v_cmp_lt_f32_e32 vcc, v3, v1
	s_waitcnt lgkmcnt(0)
	v_cndmask_b32_e32 v5, v1, v3, vcc
	v_cmp_lt_f32_e32 vcc, v4, v2
	v_cndmask_b32_e32 v6, v2, v4, vcc
	v_cmp_lt_f32_e32 vcc, v1, v3
	;; [unrolled: 2-line block ×3, first 2 shown]
	v_cndmask_b32_e32 v4, v2, v4, vcc
	v_mov_b32_e32 v2, v6
	v_mov_b32_e32 v1, v5
.LBB33_214:
	s_or_b64 exec, exec, s[2:3]
	s_waitcnt lgkmcnt(0)
	v_mbcnt_lo_u32_b32 v5, -1, 0
	v_mbcnt_hi_u32_b32 v5, -1, v5
	v_and_b32_e32 v6, 63, v5
	v_cmp_ne_u32_e32 vcc, 63, v6
	v_addc_co_u32_e32 v7, vcc, 0, v5, vcc
	v_lshlrev_b32_e32 v7, 2, v7
	ds_bpermute_b32 v11, v7, v1
	ds_bpermute_b32 v10, v7, v2
	;; [unrolled: 1-line block ×4, first 2 shown]
	s_min_u32 s2, s8, 0x100
	v_and_b32_e32 v7, 0xc0, v0
	v_sub_u32_e64 v7, s2, v7 clamp
	v_add_u32_e32 v12, 1, v6
	v_cmp_lt_u32_e32 vcc, v12, v7
	s_and_saveexec_b64 s[0:1], vcc
	s_xor_b64 s[0:1], exec, s[0:1]
	s_cbranch_execz .LBB33_216
; %bb.215:
	s_waitcnt lgkmcnt(3)
	v_cmp_gt_f32_e32 vcc, v1, v11
	v_cndmask_b32_e32 v1, v1, v11, vcc
	s_waitcnt lgkmcnt(2)
	v_cmp_gt_f32_e32 vcc, v2, v10
	v_cndmask_b32_e32 v2, v2, v10, vcc
	s_waitcnt lgkmcnt(1)
	v_cmp_lt_f32_e32 vcc, v3, v9
	v_cndmask_b32_e32 v3, v3, v9, vcc
	s_waitcnt lgkmcnt(0)
	v_cmp_lt_f32_e32 vcc, v4, v8
	v_cndmask_b32_e32 v4, v4, v8, vcc
.LBB33_216:
	s_or_b64 exec, exec, s[0:1]
	v_cmp_gt_u32_e32 vcc, 62, v6
	s_waitcnt lgkmcnt(0)
	v_cndmask_b32_e64 v8, 0, 2, vcc
	v_add_lshl_u32 v8, v8, v5, 2
	ds_bpermute_b32 v11, v8, v1
	ds_bpermute_b32 v10, v8, v2
	ds_bpermute_b32 v9, v8, v3
	ds_bpermute_b32 v8, v8, v4
	v_add_u32_e32 v12, 2, v6
	v_cmp_lt_u32_e32 vcc, v12, v7
	s_and_saveexec_b64 s[0:1], vcc
	s_cbranch_execz .LBB33_218
; %bb.217:
	s_waitcnt lgkmcnt(3)
	v_cmp_gt_f32_e32 vcc, v1, v11
	v_cndmask_b32_e32 v1, v1, v11, vcc
	s_waitcnt lgkmcnt(2)
	v_cmp_gt_f32_e32 vcc, v2, v10
	v_cndmask_b32_e32 v2, v2, v10, vcc
	s_waitcnt lgkmcnt(1)
	v_cmp_lt_f32_e32 vcc, v3, v9
	v_cndmask_b32_e32 v3, v3, v9, vcc
	s_waitcnt lgkmcnt(0)
	v_cmp_lt_f32_e32 vcc, v4, v8
	v_cndmask_b32_e32 v4, v4, v8, vcc
.LBB33_218:
	s_or_b64 exec, exec, s[0:1]
	v_cmp_gt_u32_e32 vcc, 60, v6
	s_waitcnt lgkmcnt(0)
	v_cndmask_b32_e64 v8, 0, 4, vcc
	v_add_lshl_u32 v8, v8, v5, 2
	ds_bpermute_b32 v11, v8, v1
	ds_bpermute_b32 v10, v8, v2
	ds_bpermute_b32 v9, v8, v3
	ds_bpermute_b32 v8, v8, v4
	v_add_u32_e32 v12, 4, v6
	v_cmp_lt_u32_e32 vcc, v12, v7
	s_and_saveexec_b64 s[0:1], vcc
	;; [unrolled: 27-line block ×4, first 2 shown]
	s_cbranch_execz .LBB33_224
; %bb.223:
	s_waitcnt lgkmcnt(3)
	v_cmp_gt_f32_e32 vcc, v1, v11
	v_cndmask_b32_e32 v1, v1, v11, vcc
	s_waitcnt lgkmcnt(2)
	v_cmp_gt_f32_e32 vcc, v2, v10
	v_cndmask_b32_e32 v2, v2, v10, vcc
	s_waitcnt lgkmcnt(1)
	v_cmp_lt_f32_e32 vcc, v3, v9
	v_cndmask_b32_e32 v3, v3, v9, vcc
	s_waitcnt lgkmcnt(0)
	v_cmp_lt_f32_e32 vcc, v4, v8
	v_cndmask_b32_e32 v4, v4, v8, vcc
.LBB33_224:
	s_or_b64 exec, exec, s[0:1]
	s_waitcnt lgkmcnt(0)
	v_lshlrev_b32_e32 v8, 2, v5
	v_or_b32_e32 v9, 0x80, v8
	ds_bpermute_b32 v12, v9, v1
	ds_bpermute_b32 v11, v9, v2
	;; [unrolled: 1-line block ×4, first 2 shown]
	v_add_u32_e32 v6, 32, v6
	v_cmp_lt_u32_e32 vcc, v6, v7
	s_and_saveexec_b64 s[0:1], vcc
	s_cbranch_execz .LBB33_226
; %bb.225:
	s_waitcnt lgkmcnt(3)
	v_cmp_gt_f32_e32 vcc, v1, v12
	v_cndmask_b32_e32 v1, v1, v12, vcc
	s_waitcnt lgkmcnt(2)
	v_cmp_gt_f32_e32 vcc, v2, v11
	v_cndmask_b32_e32 v2, v2, v11, vcc
	s_waitcnt lgkmcnt(1)
	v_cmp_lt_f32_e32 vcc, v3, v10
	v_cndmask_b32_e32 v3, v3, v10, vcc
	s_waitcnt lgkmcnt(0)
	v_cmp_lt_f32_e32 vcc, v4, v9
	v_cndmask_b32_e32 v4, v4, v9, vcc
.LBB33_226:
	s_or_b64 exec, exec, s[0:1]
	v_cmp_eq_u32_e32 vcc, 0, v5
	s_and_saveexec_b64 s[0:1], vcc
; %bb.227:
	v_lshrrev_b32_e32 v6, 2, v0
	v_and_b32_e32 v6, 48, v6
	ds_write2_b64 v6, v[1:2], v[3:4] offset1:1
; %bb.228:
	s_or_b64 exec, exec, s[0:1]
	v_cmp_gt_u32_e32 vcc, 4, v0
	s_waitcnt lgkmcnt(0)
	s_barrier
	s_and_saveexec_b64 s[0:1], vcc
	s_cbranch_execz .LBB33_234
; %bb.229:
	v_lshlrev_b32_e32 v1, 4, v5
	ds_read2_b64 v[1:4], v1 offset1:1
	v_and_b32_e32 v6, 3, v5
	v_cmp_ne_u32_e32 vcc, 3, v6
	v_addc_co_u32_e32 v5, vcc, 0, v5, vcc
	v_lshlrev_b32_e32 v5, 2, v5
	s_waitcnt lgkmcnt(0)
	ds_bpermute_b32 v10, v5, v1
	ds_bpermute_b32 v9, v5, v2
	;; [unrolled: 1-line block ×4, first 2 shown]
	s_add_i32 s2, s2, 63
	s_lshr_b32 s8, s2, 6
	v_add_u32_e32 v11, 1, v6
	v_cmp_gt_u32_e32 vcc, s8, v11
	s_and_saveexec_b64 s[2:3], vcc
	s_cbranch_execz .LBB33_231
; %bb.230:
	s_waitcnt lgkmcnt(3)
	v_cmp_gt_f32_e32 vcc, v1, v10
	v_cndmask_b32_e32 v1, v1, v10, vcc
	s_waitcnt lgkmcnt(2)
	v_cmp_gt_f32_e32 vcc, v2, v9
	v_cndmask_b32_e32 v2, v2, v9, vcc
	s_waitcnt lgkmcnt(1)
	v_cmp_lt_f32_e32 vcc, v3, v7
	v_cndmask_b32_e32 v3, v3, v7, vcc
	s_waitcnt lgkmcnt(0)
	v_cmp_lt_f32_e32 vcc, v4, v5
	v_cndmask_b32_e32 v4, v4, v5, vcc
.LBB33_231:
	s_or_b64 exec, exec, s[2:3]
	s_waitcnt lgkmcnt(0)
	v_or_b32_e32 v5, 8, v8
	ds_bpermute_b32 v9, v5, v1
	ds_bpermute_b32 v8, v5, v2
	;; [unrolled: 1-line block ×4, first 2 shown]
	v_add_u32_e32 v6, 2, v6
	v_cmp_gt_u32_e32 vcc, s8, v6
	s_and_saveexec_b64 s[2:3], vcc
	s_cbranch_execz .LBB33_233
; %bb.232:
	s_waitcnt lgkmcnt(3)
	v_cmp_gt_f32_e32 vcc, v1, v9
	v_cndmask_b32_e32 v1, v1, v9, vcc
	s_waitcnt lgkmcnt(2)
	v_cmp_gt_f32_e32 vcc, v2, v8
	v_cndmask_b32_e32 v2, v2, v8, vcc
	s_waitcnt lgkmcnt(1)
	v_cmp_lt_f32_e32 vcc, v3, v7
	v_cndmask_b32_e32 v3, v3, v7, vcc
	s_waitcnt lgkmcnt(0)
	v_cmp_lt_f32_e32 vcc, v4, v5
	v_cndmask_b32_e32 v4, v4, v5, vcc
.LBB33_233:
	s_or_b64 exec, exec, s[2:3]
.LBB33_234:
	s_or_b64 exec, exec, s[0:1]
.LBB33_235:
	v_cmp_eq_u32_e32 vcc, 0, v0
                                        ; implicit-def: $vgpr8
	s_and_saveexec_b64 s[0:1], vcc
	s_xor_b64 s[0:1], exec, s[0:1]
	s_cbranch_execz .LBB33_239
; %bb.236:
	s_cmp_eq_u64 s[42:43], 0
	s_waitcnt lgkmcnt(2)
	v_mov_b32_e32 v8, s39
	s_waitcnt lgkmcnt(1)
	v_mov_b32_e32 v7, s38
	v_mov_b32_e32 v6, s37
	s_waitcnt lgkmcnt(0)
	v_mov_b32_e32 v5, s36
	s_cbranch_scc1 .LBB33_238
; %bb.237:
	v_mov_b32_e32 v5, s36
	v_cmp_gt_f32_e32 vcc, s36, v1
	v_cndmask_b32_e32 v5, v5, v1, vcc
	v_mov_b32_e32 v1, s37
	v_cmp_gt_f32_e32 vcc, s37, v2
	v_cndmask_b32_e32 v6, v1, v2, vcc
	v_mov_b32_e32 v1, s38
	v_cmp_lt_f32_e32 vcc, s38, v3
	v_cndmask_b32_e32 v7, v1, v3, vcc
	v_mov_b32_e32 v1, s39
	v_cmp_lt_f32_e32 vcc, s39, v4
	v_cndmask_b32_e32 v8, v1, v4, vcc
.LBB33_238:
	s_or_b64 s[16:17], s[16:17], exec
.LBB33_239:
	s_or_b64 exec, exec, s[0:1]
	s_branch .LBB33_248
.LBB33_240:
	s_cmp_eq_u32 s33, 1
	s_cbranch_scc0 .LBB33_247
; %bb.241:
	s_mov_b32 s1, 0
	s_lshl_b32 s0, s6, 8
	s_mov_b32 s7, s1
	s_lshr_b64 s[2:3], s[42:43], 8
	s_cmp_lg_u64 s[2:3], s[6:7]
	s_waitcnt lgkmcnt(0)
	v_mbcnt_lo_u32_b32 v5, -1, 0
	s_cbranch_scc0 .LBB33_251
; %bb.242:
	s_lshl_b64 s[2:3], s[0:1], 3
	s_add_u32 s2, s40, s2
	s_addc_u32 s3, s41, s3
	v_lshlrev_b32_e32 v1, 3, v0
	global_load_dwordx2 v[1:2], v1, s[2:3]
	v_mbcnt_hi_u32_b32 v6, -1, v5
	v_lshlrev_b32_e32 v7, 2, v6
	v_or_b32_e32 v4, 0xfc, v7
	s_waitcnt vmcnt(0)
	v_mov_b32_dpp v3, v1 quad_perm:[1,0,3,2] row_mask:0xf bank_mask:0xf bound_ctrl:1
	v_mov_b32_dpp v8, v2 quad_perm:[1,0,3,2] row_mask:0xf bank_mask:0xf bound_ctrl:1
	v_cmp_lt_f32_e32 vcc, v1, v3
	v_cndmask_b32_e32 v9, v3, v1, vcc
	v_cmp_lt_f32_e32 vcc, v2, v8
	v_cndmask_b32_e32 v10, v8, v2, vcc
	v_cmp_gt_f32_e32 vcc, v1, v3
	v_cndmask_b32_e32 v1, v3, v1, vcc
	v_cmp_gt_f32_e32 vcc, v2, v8
	v_mov_b32_dpp v3, v9 quad_perm:[2,3,0,1] row_mask:0xf bank_mask:0xf bound_ctrl:1
	v_cndmask_b32_e32 v2, v8, v2, vcc
	v_mov_b32_dpp v8, v10 quad_perm:[2,3,0,1] row_mask:0xf bank_mask:0xf bound_ctrl:1
	v_cmp_lt_f32_e32 vcc, v9, v3
	v_mov_b32_dpp v11, v1 quad_perm:[2,3,0,1] row_mask:0xf bank_mask:0xf bound_ctrl:1
	v_cndmask_b32_e32 v3, v3, v9, vcc
	v_cmp_lt_f32_e32 vcc, v10, v8
	v_mov_b32_dpp v12, v2 quad_perm:[2,3,0,1] row_mask:0xf bank_mask:0xf bound_ctrl:1
	v_cndmask_b32_e32 v8, v8, v10, vcc
	v_cmp_gt_f32_e32 vcc, v1, v11
	v_cndmask_b32_e32 v1, v11, v1, vcc
	v_cmp_gt_f32_e32 vcc, v2, v12
	v_mov_b32_dpp v9, v3 row_ror:4 row_mask:0xf bank_mask:0xf bound_ctrl:1
	v_cndmask_b32_e32 v2, v12, v2, vcc
	v_mov_b32_dpp v10, v8 row_ror:4 row_mask:0xf bank_mask:0xf bound_ctrl:1
	v_cmp_lt_f32_e32 vcc, v3, v9
	v_mov_b32_dpp v11, v1 row_ror:4 row_mask:0xf bank_mask:0xf bound_ctrl:1
	v_cndmask_b32_e32 v3, v9, v3, vcc
	v_cmp_lt_f32_e32 vcc, v8, v10
	v_mov_b32_dpp v12, v2 row_ror:4 row_mask:0xf bank_mask:0xf bound_ctrl:1
	v_cndmask_b32_e32 v8, v10, v8, vcc
	v_cmp_gt_f32_e32 vcc, v1, v11
	v_cndmask_b32_e32 v1, v11, v1, vcc
	v_cmp_gt_f32_e32 vcc, v2, v12
	v_mov_b32_dpp v9, v3 row_ror:8 row_mask:0xf bank_mask:0xf bound_ctrl:1
	v_cndmask_b32_e32 v2, v12, v2, vcc
	v_mov_b32_dpp v10, v8 row_ror:8 row_mask:0xf bank_mask:0xf bound_ctrl:1
	v_cmp_lt_f32_e32 vcc, v3, v9
	v_mov_b32_dpp v11, v1 row_ror:8 row_mask:0xf bank_mask:0xf bound_ctrl:1
	v_cndmask_b32_e32 v3, v9, v3, vcc
	v_cmp_lt_f32_e32 vcc, v8, v10
	v_mov_b32_dpp v12, v2 row_ror:8 row_mask:0xf bank_mask:0xf bound_ctrl:1
	v_cndmask_b32_e32 v8, v10, v8, vcc
	v_cmp_gt_f32_e32 vcc, v1, v11
	v_cndmask_b32_e32 v1, v11, v1, vcc
	v_cmp_gt_f32_e32 vcc, v2, v12
	v_mov_b32_dpp v9, v3 row_bcast:15 row_mask:0xf bank_mask:0xf bound_ctrl:1
	v_cndmask_b32_e32 v2, v12, v2, vcc
	v_mov_b32_dpp v10, v8 row_bcast:15 row_mask:0xf bank_mask:0xf bound_ctrl:1
	v_cmp_lt_f32_e32 vcc, v3, v9
	v_mov_b32_dpp v11, v1 row_bcast:15 row_mask:0xf bank_mask:0xf bound_ctrl:1
	v_cndmask_b32_e32 v3, v9, v3, vcc
	v_cmp_lt_f32_e32 vcc, v8, v10
	v_mov_b32_dpp v12, v2 row_bcast:15 row_mask:0xf bank_mask:0xf bound_ctrl:1
	v_cndmask_b32_e32 v8, v10, v8, vcc
	v_cmp_gt_f32_e32 vcc, v1, v11
	v_cndmask_b32_e32 v1, v11, v1, vcc
	v_cmp_gt_f32_e32 vcc, v2, v12
	v_mov_b32_dpp v9, v3 row_bcast:31 row_mask:0xf bank_mask:0xf bound_ctrl:1
	v_cndmask_b32_e32 v2, v12, v2, vcc
	v_mov_b32_dpp v10, v8 row_bcast:31 row_mask:0xf bank_mask:0xf bound_ctrl:1
	v_cmp_lt_f32_e32 vcc, v3, v9
	v_mov_b32_dpp v11, v1 row_bcast:31 row_mask:0xf bank_mask:0xf bound_ctrl:1
	v_cndmask_b32_e32 v3, v9, v3, vcc
	v_cmp_lt_f32_e32 vcc, v8, v10
	v_mov_b32_dpp v12, v2 row_bcast:31 row_mask:0xf bank_mask:0xf bound_ctrl:1
	v_cndmask_b32_e32 v8, v10, v8, vcc
	v_cmp_gt_f32_e32 vcc, v1, v11
	v_cndmask_b32_e32 v9, v11, v1, vcc
	v_cmp_gt_f32_e32 vcc, v2, v12
	v_cndmask_b32_e32 v10, v12, v2, vcc
	ds_bpermute_b32 v1, v4, v3
	ds_bpermute_b32 v2, v4, v8
	;; [unrolled: 1-line block ×4, first 2 shown]
	v_cmp_eq_u32_e32 vcc, 0, v6
	s_and_saveexec_b64 s[2:3], vcc
	s_cbranch_execz .LBB33_244
; %bb.243:
	v_lshrrev_b32_e32 v8, 2, v0
	v_and_b32_e32 v8, 48, v8
	s_waitcnt lgkmcnt(0)
	ds_write2_b64 v8, v[1:2], v[3:4] offset0:16 offset1:17
.LBB33_244:
	s_or_b64 exec, exec, s[2:3]
	v_cmp_gt_u32_e32 vcc, 64, v0
	s_waitcnt lgkmcnt(0)
	s_barrier
	s_and_saveexec_b64 s[2:3], vcc
	s_cbranch_execz .LBB33_246
; %bb.245:
	v_and_b32_e32 v8, 3, v6
	v_lshlrev_b32_e32 v1, 4, v8
	ds_read2_b64 v[1:4], v1 offset0:16 offset1:17
	v_cmp_ne_u32_e32 vcc, 3, v8
	v_addc_co_u32_e32 v6, vcc, 0, v6, vcc
	v_lshlrev_b32_e32 v6, 2, v6
	s_waitcnt lgkmcnt(0)
	ds_bpermute_b32 v8, v6, v1
	ds_bpermute_b32 v9, v6, v2
	;; [unrolled: 1-line block ×4, first 2 shown]
	v_or_b32_e32 v7, 8, v7
	s_waitcnt lgkmcnt(3)
	v_cmp_gt_f32_e32 vcc, v1, v8
	v_cndmask_b32_e32 v1, v1, v8, vcc
	s_waitcnt lgkmcnt(2)
	v_cmp_gt_f32_e32 vcc, v2, v9
	v_cndmask_b32_e32 v2, v2, v9, vcc
	s_waitcnt lgkmcnt(1)
	v_cmp_lt_f32_e32 vcc, v3, v10
	v_cndmask_b32_e32 v3, v3, v10, vcc
	ds_bpermute_b32 v8, v7, v1
	s_waitcnt lgkmcnt(1)
	v_cmp_lt_f32_e32 vcc, v4, v6
	v_cndmask_b32_e32 v4, v4, v6, vcc
	ds_bpermute_b32 v6, v7, v2
	ds_bpermute_b32 v9, v7, v3
	;; [unrolled: 1-line block ×3, first 2 shown]
	s_waitcnt lgkmcnt(3)
	v_cmp_gt_f32_e32 vcc, v1, v8
	v_cndmask_b32_e32 v1, v1, v8, vcc
	s_waitcnt lgkmcnt(2)
	v_cmp_gt_f32_e32 vcc, v2, v6
	v_cndmask_b32_e32 v2, v2, v6, vcc
	s_waitcnt lgkmcnt(1)
	v_cmp_lt_f32_e32 vcc, v3, v9
	v_cndmask_b32_e32 v3, v3, v9, vcc
	s_waitcnt lgkmcnt(0)
	v_cmp_lt_f32_e32 vcc, v4, v7
	v_cndmask_b32_e32 v4, v4, v7, vcc
.LBB33_246:
	s_or_b64 exec, exec, s[2:3]
	s_branch .LBB33_275
.LBB33_247:
                                        ; implicit-def: $vgpr8
                                        ; implicit-def: $sgpr6_sgpr7
.LBB33_248:
	s_and_saveexec_b64 s[0:1], s[16:17]
	s_cbranch_execz .LBB33_250
.LBB33_249:
	s_load_dwordx2 s[0:1], s[4:5], 0x18
	s_lshl_b64 s[2:3], s[6:7], 4
	v_mov_b32_e32 v0, 0
	s_waitcnt lgkmcnt(0)
	s_add_u32 s0, s0, s2
	s_addc_u32 s1, s1, s3
	global_store_dwordx4 v0, v[5:8], s[0:1]
.LBB33_250:
	s_endpgm
.LBB33_251:
                                        ; implicit-def: $vgpr4
	s_cbranch_execz .LBB33_275
; %bb.252:
	s_sub_i32 s8, s42, s0
	v_cmp_gt_u32_e32 vcc, s8, v0
	v_mov_b32_e32 v2, 0
	v_mov_b32_e32 v1, 0
	s_and_saveexec_b64 s[2:3], vcc
	s_cbranch_execz .LBB33_254
; %bb.253:
	s_lshl_b64 s[0:1], s[0:1], 3
	s_add_u32 s0, s40, s0
	s_addc_u32 s1, s41, s1
	v_lshlrev_b32_e32 v1, 3, v0
	global_load_dwordx2 v[1:2], v1, s[0:1]
.LBB33_254:
	s_or_b64 exec, exec, s[2:3]
	v_mbcnt_hi_u32_b32 v5, -1, v5
	v_and_b32_e32 v7, 63, v5
	v_cmp_ne_u32_e32 vcc, 63, v7
	v_addc_co_u32_e32 v4, vcc, 0, v5, vcc
	v_lshlrev_b32_e32 v4, 2, v4
	s_waitcnt vmcnt(0)
	ds_bpermute_b32 v11, v4, v1
	ds_bpermute_b32 v10, v4, v2
	s_min_u32 s2, s8, 0x100
	v_and_b32_e32 v3, 0xc0, v0
	v_sub_u32_e64 v6, s2, v3 clamp
	v_add_u32_e32 v3, 1, v7
	v_cmp_lt_u32_e32 vcc, v3, v6
	v_mov_b32_e32 v3, v1
	v_mov_b32_e32 v4, v2
	v_mov_b32_e32 v8, v2
	v_mov_b32_e32 v9, v1
	s_and_saveexec_b64 s[0:1], vcc
	s_cbranch_execz .LBB33_256
; %bb.255:
	s_waitcnt lgkmcnt(1)
	v_cmp_gt_f32_e32 vcc, v1, v11
	v_cndmask_b32_e32 v8, v1, v11, vcc
	s_waitcnt lgkmcnt(0)
	v_cmp_gt_f32_e32 vcc, v2, v10
	v_cndmask_b32_e32 v9, v2, v10, vcc
	v_cmp_lt_f32_e32 vcc, v1, v11
	v_cndmask_b32_e32 v3, v1, v11, vcc
	v_cmp_lt_f32_e32 vcc, v2, v10
	v_cndmask_b32_e32 v4, v2, v10, vcc
	v_mov_b32_e32 v2, v9
	v_mov_b32_e32 v1, v8
	;; [unrolled: 1-line block ×4, first 2 shown]
.LBB33_256:
	s_or_b64 exec, exec, s[0:1]
	v_cmp_gt_u32_e32 vcc, 62, v7
	s_waitcnt lgkmcnt(0)
	v_cndmask_b32_e64 v10, 0, 2, vcc
	v_add_lshl_u32 v10, v10, v5, 2
	ds_bpermute_b32 v13, v10, v1
	ds_bpermute_b32 v12, v10, v2
	ds_bpermute_b32 v11, v10, v9
	ds_bpermute_b32 v10, v10, v8
	v_add_u32_e32 v14, 2, v7
	v_cmp_lt_u32_e32 vcc, v14, v6
	s_and_saveexec_b64 s[0:1], vcc
	s_cbranch_execz .LBB33_258
; %bb.257:
	s_waitcnt lgkmcnt(3)
	v_cmp_gt_f32_e32 vcc, v1, v13
	v_cndmask_b32_e32 v1, v1, v13, vcc
	s_waitcnt lgkmcnt(2)
	v_cmp_gt_f32_e32 vcc, v2, v12
	v_cndmask_b32_e32 v2, v2, v12, vcc
	s_waitcnt lgkmcnt(1)
	v_cmp_lt_f32_e32 vcc, v3, v11
	v_cndmask_b32_e32 v3, v3, v11, vcc
	s_waitcnt lgkmcnt(0)
	v_cmp_lt_f32_e32 vcc, v4, v10
	v_cndmask_b32_e32 v4, v4, v10, vcc
	v_mov_b32_e32 v8, v4
	v_mov_b32_e32 v9, v3
.LBB33_258:
	s_or_b64 exec, exec, s[0:1]
	v_cmp_gt_u32_e32 vcc, 60, v7
	s_waitcnt lgkmcnt(0)
	v_cndmask_b32_e64 v10, 0, 4, vcc
	v_add_lshl_u32 v10, v10, v5, 2
	ds_bpermute_b32 v13, v10, v1
	ds_bpermute_b32 v12, v10, v2
	ds_bpermute_b32 v11, v10, v9
	ds_bpermute_b32 v10, v10, v8
	v_add_u32_e32 v14, 4, v7
	v_cmp_lt_u32_e32 vcc, v14, v6
	s_and_saveexec_b64 s[0:1], vcc
	s_cbranch_execz .LBB33_260
; %bb.259:
	s_waitcnt lgkmcnt(3)
	v_cmp_gt_f32_e32 vcc, v1, v13
	v_cndmask_b32_e32 v1, v1, v13, vcc
	s_waitcnt lgkmcnt(2)
	v_cmp_gt_f32_e32 vcc, v2, v12
	v_cndmask_b32_e32 v2, v2, v12, vcc
	s_waitcnt lgkmcnt(1)
	v_cmp_lt_f32_e32 vcc, v3, v11
	v_cndmask_b32_e32 v3, v3, v11, vcc
	s_waitcnt lgkmcnt(0)
	v_cmp_lt_f32_e32 vcc, v4, v10
	v_cndmask_b32_e32 v4, v4, v10, vcc
	v_mov_b32_e32 v8, v4
	v_mov_b32_e32 v9, v3
.LBB33_260:
	;; [unrolled: 29-line block ×4, first 2 shown]
	s_or_b64 exec, exec, s[0:1]
	s_waitcnt lgkmcnt(0)
	v_lshlrev_b32_e32 v10, 2, v5
	v_or_b32_e32 v13, 0x80, v10
	ds_bpermute_b32 v12, v13, v1
	ds_bpermute_b32 v11, v13, v2
	;; [unrolled: 1-line block ×4, first 2 shown]
	v_add_u32_e32 v7, 32, v7
	v_cmp_lt_u32_e32 vcc, v7, v6
	s_and_saveexec_b64 s[0:1], vcc
	s_cbranch_execz .LBB33_266
; %bb.265:
	s_waitcnt lgkmcnt(3)
	v_cmp_gt_f32_e32 vcc, v1, v12
	v_cndmask_b32_e32 v1, v1, v12, vcc
	s_waitcnt lgkmcnt(2)
	v_cmp_gt_f32_e32 vcc, v2, v11
	v_cndmask_b32_e32 v2, v2, v11, vcc
	s_waitcnt lgkmcnt(1)
	v_cmp_lt_f32_e32 vcc, v3, v9
	v_cndmask_b32_e32 v3, v3, v9, vcc
	s_waitcnt lgkmcnt(0)
	v_cmp_lt_f32_e32 vcc, v4, v8
	v_cndmask_b32_e32 v4, v4, v8, vcc
.LBB33_266:
	s_or_b64 exec, exec, s[0:1]
	v_cmp_eq_u32_e32 vcc, 0, v5
	s_and_saveexec_b64 s[0:1], vcc
; %bb.267:
	v_lshrrev_b32_e32 v6, 2, v0
	v_and_b32_e32 v6, 48, v6
	ds_write2_b64 v6, v[1:2], v[3:4] offset1:1
; %bb.268:
	s_or_b64 exec, exec, s[0:1]
	v_cmp_gt_u32_e32 vcc, 4, v0
	s_waitcnt lgkmcnt(0)
	s_barrier
	s_and_saveexec_b64 s[0:1], vcc
	s_cbranch_execz .LBB33_274
; %bb.269:
	v_lshlrev_b32_e32 v1, 4, v5
	ds_read2_b64 v[1:4], v1 offset1:1
	v_and_b32_e32 v6, 3, v5
	v_cmp_ne_u32_e32 vcc, 3, v6
	v_addc_co_u32_e32 v5, vcc, 0, v5, vcc
	v_lshlrev_b32_e32 v5, 2, v5
	s_waitcnt lgkmcnt(0)
	ds_bpermute_b32 v9, v5, v1
	ds_bpermute_b32 v8, v5, v2
	;; [unrolled: 1-line block ×4, first 2 shown]
	s_add_i32 s2, s2, 63
	s_lshr_b32 s8, s2, 6
	v_add_u32_e32 v11, 1, v6
	v_cmp_gt_u32_e32 vcc, s8, v11
	s_and_saveexec_b64 s[2:3], vcc
	s_cbranch_execz .LBB33_271
; %bb.270:
	s_waitcnt lgkmcnt(3)
	v_cmp_gt_f32_e32 vcc, v1, v9
	v_cndmask_b32_e32 v1, v1, v9, vcc
	s_waitcnt lgkmcnt(2)
	v_cmp_gt_f32_e32 vcc, v2, v8
	v_cndmask_b32_e32 v2, v2, v8, vcc
	s_waitcnt lgkmcnt(1)
	v_cmp_lt_f32_e32 vcc, v3, v7
	v_cndmask_b32_e32 v3, v3, v7, vcc
	s_waitcnt lgkmcnt(0)
	v_cmp_lt_f32_e32 vcc, v4, v5
	v_cndmask_b32_e32 v4, v4, v5, vcc
.LBB33_271:
	s_or_b64 exec, exec, s[2:3]
	s_waitcnt lgkmcnt(0)
	v_or_b32_e32 v5, 8, v10
	ds_bpermute_b32 v9, v5, v1
	ds_bpermute_b32 v8, v5, v2
	;; [unrolled: 1-line block ×4, first 2 shown]
	v_add_u32_e32 v6, 2, v6
	v_cmp_gt_u32_e32 vcc, s8, v6
	s_and_saveexec_b64 s[2:3], vcc
	s_cbranch_execz .LBB33_273
; %bb.272:
	s_waitcnt lgkmcnt(3)
	v_cmp_gt_f32_e32 vcc, v1, v9
	v_cndmask_b32_e32 v1, v1, v9, vcc
	s_waitcnt lgkmcnt(2)
	v_cmp_gt_f32_e32 vcc, v2, v8
	v_cndmask_b32_e32 v2, v2, v8, vcc
	s_waitcnt lgkmcnt(1)
	v_cmp_lt_f32_e32 vcc, v3, v7
	v_cndmask_b32_e32 v3, v3, v7, vcc
	s_waitcnt lgkmcnt(0)
	v_cmp_lt_f32_e32 vcc, v4, v5
	v_cndmask_b32_e32 v4, v4, v5, vcc
.LBB33_273:
	s_or_b64 exec, exec, s[2:3]
.LBB33_274:
	s_or_b64 exec, exec, s[0:1]
.LBB33_275:
	v_cmp_eq_u32_e32 vcc, 0, v0
                                        ; implicit-def: $vgpr8
	s_and_saveexec_b64 s[0:1], vcc
	s_cbranch_execz .LBB33_279
; %bb.276:
	s_cmp_eq_u64 s[42:43], 0
	s_waitcnt lgkmcnt(2)
	v_mov_b32_e32 v8, s39
	s_waitcnt lgkmcnt(1)
	v_mov_b32_e32 v7, s38
	v_mov_b32_e32 v6, s37
	s_waitcnt lgkmcnt(0)
	v_mov_b32_e32 v5, s36
	s_cbranch_scc1 .LBB33_278
; %bb.277:
	v_mov_b32_e32 v0, s36
	v_cmp_gt_f32_e32 vcc, s36, v1
	v_cndmask_b32_e32 v5, v0, v1, vcc
	v_mov_b32_e32 v0, s37
	v_cmp_gt_f32_e32 vcc, s37, v2
	v_cndmask_b32_e32 v6, v0, v2, vcc
	v_mov_b32_e32 v0, s38
	v_cmp_lt_f32_e32 vcc, s38, v3
	v_cndmask_b32_e32 v7, v0, v3, vcc
	v_mov_b32_e32 v0, s39
	v_cmp_lt_f32_e32 vcc, s39, v4
	v_cndmask_b32_e32 v8, v0, v4, vcc
.LBB33_278:
	s_or_b64 s[16:17], s[16:17], exec
.LBB33_279:
	s_or_b64 exec, exec, s[0:1]
	s_and_saveexec_b64 s[0:1], s[16:17]
	s_cbranch_execnz .LBB33_249
	s_branch .LBB33_250
.LBB33_280:
	v_cmp_lt_f32_e64 s[2:3], v7, v1
	v_cndmask_b32_e64 v11, v1, v7, s[2:3]
	v_cmp_lt_f32_e64 s[2:3], v8, v2
	v_cndmask_b32_e64 v12, v2, v8, s[2:3]
	;; [unrolled: 2-line block ×4, first 2 shown]
	v_mov_b32_e32 v2, v12
	v_mov_b32_e32 v1, v11
	s_or_b64 exec, exec, s[8:9]
	s_and_saveexec_b64 s[2:3], s[0:1]
	s_cbranch_execz .LBB33_171
.LBB33_281:
	v_cmp_lt_f32_e64 s[0:1], v9, v1
	v_cndmask_b32_e64 v1, v1, v9, s[0:1]
	v_cmp_lt_f32_e64 s[0:1], v10, v2
	v_cndmask_b32_e64 v2, v2, v10, s[0:1]
	;; [unrolled: 2-line block ×4, first 2 shown]
	s_or_b64 exec, exec, s[2:3]
	s_and_saveexec_b64 s[0:1], vcc
	s_cbranch_execnz .LBB33_172
	s_branch .LBB33_173
.LBB33_282:
	v_cmp_lt_f32_e64 s[30:31], v29, v1
	v_cndmask_b32_e64 v35, v1, v29, s[30:31]
	v_cmp_lt_f32_e64 s[30:31], v30, v2
	v_cndmask_b32_e64 v36, v2, v30, s[30:31]
	;; [unrolled: 2-line block ×4, first 2 shown]
	v_mov_b32_e32 v2, v36
	v_mov_b32_e32 v1, v35
	s_or_b64 exec, exec, s[44:45]
	s_and_saveexec_b64 s[30:31], s[28:29]
	s_cbranch_execz .LBB33_58
.LBB33_283:
	v_cmp_lt_f32_e64 s[28:29], v33, v1
	v_cndmask_b32_e64 v1, v1, v33, s[28:29]
	v_cmp_lt_f32_e64 s[28:29], v34, v2
	v_cndmask_b32_e64 v2, v2, v34, s[28:29]
	;; [unrolled: 2-line block ×4, first 2 shown]
	s_or_b64 exec, exec, s[30:31]
	s_and_saveexec_b64 s[28:29], s[26:27]
	s_cbranch_execz .LBB33_59
.LBB33_284:
	v_cmp_lt_f32_e64 s[26:27], v27, v1
	v_cndmask_b32_e64 v1, v1, v27, s[26:27]
	v_cmp_lt_f32_e64 s[26:27], v28, v2
	v_cndmask_b32_e64 v2, v2, v28, s[26:27]
	;; [unrolled: 2-line block ×4, first 2 shown]
	s_or_b64 exec, exec, s[28:29]
	s_and_saveexec_b64 s[26:27], s[24:25]
	s_cbranch_execz .LBB33_60
.LBB33_285:
	v_cmp_lt_f32_e64 s[24:25], v31, v1
	v_cndmask_b32_e64 v1, v1, v31, s[24:25]
	v_cmp_lt_f32_e64 s[24:25], v32, v2
	v_cndmask_b32_e64 v2, v2, v32, s[24:25]
	;; [unrolled: 2-line block ×4, first 2 shown]
	s_or_b64 exec, exec, s[26:27]
	s_and_saveexec_b64 s[24:25], s[22:23]
	s_cbranch_execz .LBB33_61
.LBB33_286:
	v_cmp_lt_f32_e64 s[22:23], v23, v1
	v_cndmask_b32_e64 v1, v1, v23, s[22:23]
	v_cmp_lt_f32_e64 s[22:23], v24, v2
	v_cndmask_b32_e64 v2, v2, v24, s[22:23]
	;; [unrolled: 2-line block ×4, first 2 shown]
	s_or_b64 exec, exec, s[24:25]
	s_and_saveexec_b64 s[22:23], s[20:21]
	s_cbranch_execz .LBB33_62
.LBB33_287:
	v_cmp_lt_f32_e64 s[20:21], v25, v1
	v_cndmask_b32_e64 v1, v1, v25, s[20:21]
	v_cmp_lt_f32_e64 s[20:21], v26, v2
	v_cndmask_b32_e64 v2, v2, v26, s[20:21]
	;; [unrolled: 2-line block ×4, first 2 shown]
	s_or_b64 exec, exec, s[22:23]
	s_and_saveexec_b64 s[20:21], s[18:19]
	s_cbranch_execz .LBB33_63
.LBB33_288:
	v_cmp_lt_f32_e64 s[18:19], v19, v1
	v_cndmask_b32_e64 v1, v1, v19, s[18:19]
	v_cmp_lt_f32_e64 s[18:19], v20, v2
	v_cndmask_b32_e64 v2, v2, v20, s[18:19]
	;; [unrolled: 2-line block ×4, first 2 shown]
	s_or_b64 exec, exec, s[20:21]
	s_and_saveexec_b64 s[18:19], s[16:17]
	s_cbranch_execz .LBB33_64
.LBB33_289:
	v_cmp_lt_f32_e64 s[16:17], v21, v1
	v_cndmask_b32_e64 v1, v1, v21, s[16:17]
	v_cmp_lt_f32_e64 s[16:17], v22, v2
	v_cndmask_b32_e64 v2, v2, v22, s[16:17]
	;; [unrolled: 2-line block ×4, first 2 shown]
	s_or_b64 exec, exec, s[18:19]
	s_and_saveexec_b64 s[16:17], s[14:15]
	s_cbranch_execz .LBB33_65
.LBB33_290:
	v_cmp_lt_f32_e64 s[14:15], v15, v1
	v_cndmask_b32_e64 v1, v1, v15, s[14:15]
	v_cmp_lt_f32_e64 s[14:15], v16, v2
	v_cndmask_b32_e64 v2, v2, v16, s[14:15]
	;; [unrolled: 2-line block ×4, first 2 shown]
	s_or_b64 exec, exec, s[16:17]
	s_and_saveexec_b64 s[14:15], s[12:13]
	s_cbranch_execz .LBB33_66
.LBB33_291:
	v_cmp_lt_f32_e64 s[12:13], v17, v1
	v_cndmask_b32_e64 v1, v1, v17, s[12:13]
	v_cmp_lt_f32_e64 s[12:13], v18, v2
	v_cndmask_b32_e64 v2, v2, v18, s[12:13]
	;; [unrolled: 2-line block ×4, first 2 shown]
	s_or_b64 exec, exec, s[14:15]
	s_and_saveexec_b64 s[12:13], s[10:11]
	s_cbranch_execz .LBB33_67
.LBB33_292:
	v_cmp_lt_f32_e64 s[10:11], v11, v1
	v_cndmask_b32_e64 v1, v1, v11, s[10:11]
	v_cmp_lt_f32_e64 s[10:11], v12, v2
	v_cndmask_b32_e64 v2, v2, v12, s[10:11]
	;; [unrolled: 2-line block ×4, first 2 shown]
	s_or_b64 exec, exec, s[12:13]
	s_and_saveexec_b64 s[10:11], s[8:9]
	s_cbranch_execz .LBB33_68
.LBB33_293:
	v_cmp_lt_f32_e64 s[8:9], v13, v1
	v_cndmask_b32_e64 v1, v1, v13, s[8:9]
	v_cmp_lt_f32_e64 s[8:9], v14, v2
	v_cndmask_b32_e64 v2, v2, v14, s[8:9]
	;; [unrolled: 2-line block ×4, first 2 shown]
	s_or_b64 exec, exec, s[10:11]
	s_and_saveexec_b64 s[8:9], s[2:3]
	s_cbranch_execz .LBB33_69
.LBB33_294:
	v_cmp_lt_f32_e64 s[2:3], v7, v1
	v_cndmask_b32_e64 v1, v1, v7, s[2:3]
	v_cmp_lt_f32_e64 s[2:3], v8, v2
	v_cndmask_b32_e64 v2, v2, v8, s[2:3]
	;; [unrolled: 2-line block ×4, first 2 shown]
	s_or_b64 exec, exec, s[8:9]
	s_and_saveexec_b64 s[2:3], s[0:1]
	s_cbranch_execz .LBB33_70
.LBB33_295:
	v_cmp_lt_f32_e64 s[0:1], v9, v1
	v_cndmask_b32_e64 v1, v1, v9, s[0:1]
	v_cmp_lt_f32_e64 s[0:1], v10, v2
	v_cndmask_b32_e64 v2, v2, v10, s[0:1]
	;; [unrolled: 2-line block ×4, first 2 shown]
	s_or_b64 exec, exec, s[2:3]
	s_and_saveexec_b64 s[0:1], vcc
	s_cbranch_execnz .LBB33_71
	s_branch .LBB33_72
.LBB33_296:
	v_cmp_lt_f32_e64 s[14:15], v13, v1
	v_cndmask_b32_e64 v19, v1, v13, s[14:15]
	v_cmp_lt_f32_e64 s[14:15], v14, v2
	v_cndmask_b32_e64 v20, v2, v14, s[14:15]
	;; [unrolled: 2-line block ×4, first 2 shown]
	v_mov_b32_e32 v2, v20
	v_mov_b32_e32 v1, v19
	s_or_b64 exec, exec, s[18:19]
	s_and_saveexec_b64 s[14:15], s[12:13]
	s_cbranch_execz .LBB33_119
.LBB33_297:
	v_cmp_lt_f32_e64 s[12:13], v17, v1
	v_cndmask_b32_e64 v1, v1, v17, s[12:13]
	v_cmp_lt_f32_e64 s[12:13], v18, v2
	v_cndmask_b32_e64 v2, v2, v18, s[12:13]
	;; [unrolled: 2-line block ×4, first 2 shown]
	s_or_b64 exec, exec, s[14:15]
	s_and_saveexec_b64 s[12:13], s[10:11]
	s_cbranch_execz .LBB33_120
.LBB33_298:
	v_cmp_lt_f32_e64 s[10:11], v11, v1
	v_cndmask_b32_e64 v1, v1, v11, s[10:11]
	v_cmp_lt_f32_e64 s[10:11], v12, v2
	v_cndmask_b32_e64 v2, v2, v12, s[10:11]
	;; [unrolled: 2-line block ×4, first 2 shown]
	s_or_b64 exec, exec, s[12:13]
	s_and_saveexec_b64 s[10:11], s[8:9]
	s_cbranch_execz .LBB33_121
.LBB33_299:
	v_cmp_lt_f32_e64 s[8:9], v15, v1
	v_cndmask_b32_e64 v1, v1, v15, s[8:9]
	v_cmp_lt_f32_e64 s[8:9], v16, v2
	v_cndmask_b32_e64 v2, v2, v16, s[8:9]
	v_cmp_lt_f32_e64 s[8:9], v3, v15
	v_cndmask_b32_e64 v3, v3, v15, s[8:9]
	v_cmp_lt_f32_e64 s[8:9], v4, v16
	v_cndmask_b32_e64 v4, v4, v16, s[8:9]
	s_or_b64 exec, exec, s[10:11]
	s_and_saveexec_b64 s[8:9], s[2:3]
	s_cbranch_execz .LBB33_122
.LBB33_300:
	v_cmp_lt_f32_e64 s[2:3], v7, v1
	v_cndmask_b32_e64 v1, v1, v7, s[2:3]
	v_cmp_lt_f32_e64 s[2:3], v8, v2
	v_cndmask_b32_e64 v2, v2, v8, s[2:3]
	v_cmp_lt_f32_e64 s[2:3], v3, v7
	v_cndmask_b32_e64 v3, v3, v7, s[2:3]
	v_cmp_lt_f32_e64 s[2:3], v4, v8
	v_cndmask_b32_e64 v4, v4, v8, s[2:3]
	s_or_b64 exec, exec, s[8:9]
	s_and_saveexec_b64 s[2:3], s[0:1]
	s_cbranch_execz .LBB33_123
.LBB33_301:
	v_cmp_lt_f32_e64 s[0:1], v9, v1
	v_cndmask_b32_e64 v1, v1, v9, s[0:1]
	v_cmp_lt_f32_e64 s[0:1], v10, v2
	v_cndmask_b32_e64 v2, v2, v10, s[0:1]
	;; [unrolled: 2-line block ×4, first 2 shown]
	s_or_b64 exec, exec, s[2:3]
	s_and_saveexec_b64 s[0:1], vcc
	s_cbranch_execnz .LBB33_124
	s_branch .LBB33_125
	.section	.rodata,"a",@progbits
	.p2align	6, 0x0
	.amdhsa_kernel _ZN7rocprim17ROCPRIM_400000_NS6detail17trampoline_kernelINS0_14default_configENS1_22reduce_config_selectorI7point2dEEZNS1_11reduce_implILb1ES3_N6thrust23THRUST_200600_302600_NS6detail15normal_iteratorINS9_10device_ptrIS5_EEEEP4bboxSF_14bbox_reductionEE10hipError_tPvRmT1_T2_T3_mT4_P12ihipStream_tbEUlT_E1_NS1_11comp_targetILNS1_3genE2ELNS1_11target_archE906ELNS1_3gpuE6ELNS1_3repE0EEENS1_30default_config_static_selectorELNS0_4arch9wavefront6targetE1EEEvSL_
		.amdhsa_group_segment_fixed_size 384
		.amdhsa_private_segment_fixed_size 0
		.amdhsa_kernarg_size 56
		.amdhsa_user_sgpr_count 6
		.amdhsa_user_sgpr_private_segment_buffer 1
		.amdhsa_user_sgpr_dispatch_ptr 0
		.amdhsa_user_sgpr_queue_ptr 0
		.amdhsa_user_sgpr_kernarg_segment_ptr 1
		.amdhsa_user_sgpr_dispatch_id 0
		.amdhsa_user_sgpr_flat_scratch_init 0
		.amdhsa_user_sgpr_private_segment_size 0
		.amdhsa_uses_dynamic_stack 0
		.amdhsa_system_sgpr_private_segment_wavefront_offset 0
		.amdhsa_system_sgpr_workgroup_id_x 1
		.amdhsa_system_sgpr_workgroup_id_y 0
		.amdhsa_system_sgpr_workgroup_id_z 0
		.amdhsa_system_sgpr_workgroup_info 0
		.amdhsa_system_vgpr_workitem_id 0
		.amdhsa_next_free_vgpr 37
		.amdhsa_next_free_sgpr 49
		.amdhsa_reserve_vcc 1
		.amdhsa_reserve_flat_scratch 0
		.amdhsa_float_round_mode_32 0
		.amdhsa_float_round_mode_16_64 0
		.amdhsa_float_denorm_mode_32 3
		.amdhsa_float_denorm_mode_16_64 3
		.amdhsa_dx10_clamp 1
		.amdhsa_ieee_mode 1
		.amdhsa_fp16_overflow 0
		.amdhsa_exception_fp_ieee_invalid_op 0
		.amdhsa_exception_fp_denorm_src 0
		.amdhsa_exception_fp_ieee_div_zero 0
		.amdhsa_exception_fp_ieee_overflow 0
		.amdhsa_exception_fp_ieee_underflow 0
		.amdhsa_exception_fp_ieee_inexact 0
		.amdhsa_exception_int_div_zero 0
	.end_amdhsa_kernel
	.section	.text._ZN7rocprim17ROCPRIM_400000_NS6detail17trampoline_kernelINS0_14default_configENS1_22reduce_config_selectorI7point2dEEZNS1_11reduce_implILb1ES3_N6thrust23THRUST_200600_302600_NS6detail15normal_iteratorINS9_10device_ptrIS5_EEEEP4bboxSF_14bbox_reductionEE10hipError_tPvRmT1_T2_T3_mT4_P12ihipStream_tbEUlT_E1_NS1_11comp_targetILNS1_3genE2ELNS1_11target_archE906ELNS1_3gpuE6ELNS1_3repE0EEENS1_30default_config_static_selectorELNS0_4arch9wavefront6targetE1EEEvSL_,"axG",@progbits,_ZN7rocprim17ROCPRIM_400000_NS6detail17trampoline_kernelINS0_14default_configENS1_22reduce_config_selectorI7point2dEEZNS1_11reduce_implILb1ES3_N6thrust23THRUST_200600_302600_NS6detail15normal_iteratorINS9_10device_ptrIS5_EEEEP4bboxSF_14bbox_reductionEE10hipError_tPvRmT1_T2_T3_mT4_P12ihipStream_tbEUlT_E1_NS1_11comp_targetILNS1_3genE2ELNS1_11target_archE906ELNS1_3gpuE6ELNS1_3repE0EEENS1_30default_config_static_selectorELNS0_4arch9wavefront6targetE1EEEvSL_,comdat
.Lfunc_end33:
	.size	_ZN7rocprim17ROCPRIM_400000_NS6detail17trampoline_kernelINS0_14default_configENS1_22reduce_config_selectorI7point2dEEZNS1_11reduce_implILb1ES3_N6thrust23THRUST_200600_302600_NS6detail15normal_iteratorINS9_10device_ptrIS5_EEEEP4bboxSF_14bbox_reductionEE10hipError_tPvRmT1_T2_T3_mT4_P12ihipStream_tbEUlT_E1_NS1_11comp_targetILNS1_3genE2ELNS1_11target_archE906ELNS1_3gpuE6ELNS1_3repE0EEENS1_30default_config_static_selectorELNS0_4arch9wavefront6targetE1EEEvSL_, .Lfunc_end33-_ZN7rocprim17ROCPRIM_400000_NS6detail17trampoline_kernelINS0_14default_configENS1_22reduce_config_selectorI7point2dEEZNS1_11reduce_implILb1ES3_N6thrust23THRUST_200600_302600_NS6detail15normal_iteratorINS9_10device_ptrIS5_EEEEP4bboxSF_14bbox_reductionEE10hipError_tPvRmT1_T2_T3_mT4_P12ihipStream_tbEUlT_E1_NS1_11comp_targetILNS1_3genE2ELNS1_11target_archE906ELNS1_3gpuE6ELNS1_3repE0EEENS1_30default_config_static_selectorELNS0_4arch9wavefront6targetE1EEEvSL_
                                        ; -- End function
	.set _ZN7rocprim17ROCPRIM_400000_NS6detail17trampoline_kernelINS0_14default_configENS1_22reduce_config_selectorI7point2dEEZNS1_11reduce_implILb1ES3_N6thrust23THRUST_200600_302600_NS6detail15normal_iteratorINS9_10device_ptrIS5_EEEEP4bboxSF_14bbox_reductionEE10hipError_tPvRmT1_T2_T3_mT4_P12ihipStream_tbEUlT_E1_NS1_11comp_targetILNS1_3genE2ELNS1_11target_archE906ELNS1_3gpuE6ELNS1_3repE0EEENS1_30default_config_static_selectorELNS0_4arch9wavefront6targetE1EEEvSL_.num_vgpr, 37
	.set _ZN7rocprim17ROCPRIM_400000_NS6detail17trampoline_kernelINS0_14default_configENS1_22reduce_config_selectorI7point2dEEZNS1_11reduce_implILb1ES3_N6thrust23THRUST_200600_302600_NS6detail15normal_iteratorINS9_10device_ptrIS5_EEEEP4bboxSF_14bbox_reductionEE10hipError_tPvRmT1_T2_T3_mT4_P12ihipStream_tbEUlT_E1_NS1_11comp_targetILNS1_3genE2ELNS1_11target_archE906ELNS1_3gpuE6ELNS1_3repE0EEENS1_30default_config_static_selectorELNS0_4arch9wavefront6targetE1EEEvSL_.num_agpr, 0
	.set _ZN7rocprim17ROCPRIM_400000_NS6detail17trampoline_kernelINS0_14default_configENS1_22reduce_config_selectorI7point2dEEZNS1_11reduce_implILb1ES3_N6thrust23THRUST_200600_302600_NS6detail15normal_iteratorINS9_10device_ptrIS5_EEEEP4bboxSF_14bbox_reductionEE10hipError_tPvRmT1_T2_T3_mT4_P12ihipStream_tbEUlT_E1_NS1_11comp_targetILNS1_3genE2ELNS1_11target_archE906ELNS1_3gpuE6ELNS1_3repE0EEENS1_30default_config_static_selectorELNS0_4arch9wavefront6targetE1EEEvSL_.numbered_sgpr, 49
	.set _ZN7rocprim17ROCPRIM_400000_NS6detail17trampoline_kernelINS0_14default_configENS1_22reduce_config_selectorI7point2dEEZNS1_11reduce_implILb1ES3_N6thrust23THRUST_200600_302600_NS6detail15normal_iteratorINS9_10device_ptrIS5_EEEEP4bboxSF_14bbox_reductionEE10hipError_tPvRmT1_T2_T3_mT4_P12ihipStream_tbEUlT_E1_NS1_11comp_targetILNS1_3genE2ELNS1_11target_archE906ELNS1_3gpuE6ELNS1_3repE0EEENS1_30default_config_static_selectorELNS0_4arch9wavefront6targetE1EEEvSL_.num_named_barrier, 0
	.set _ZN7rocprim17ROCPRIM_400000_NS6detail17trampoline_kernelINS0_14default_configENS1_22reduce_config_selectorI7point2dEEZNS1_11reduce_implILb1ES3_N6thrust23THRUST_200600_302600_NS6detail15normal_iteratorINS9_10device_ptrIS5_EEEEP4bboxSF_14bbox_reductionEE10hipError_tPvRmT1_T2_T3_mT4_P12ihipStream_tbEUlT_E1_NS1_11comp_targetILNS1_3genE2ELNS1_11target_archE906ELNS1_3gpuE6ELNS1_3repE0EEENS1_30default_config_static_selectorELNS0_4arch9wavefront6targetE1EEEvSL_.private_seg_size, 0
	.set _ZN7rocprim17ROCPRIM_400000_NS6detail17trampoline_kernelINS0_14default_configENS1_22reduce_config_selectorI7point2dEEZNS1_11reduce_implILb1ES3_N6thrust23THRUST_200600_302600_NS6detail15normal_iteratorINS9_10device_ptrIS5_EEEEP4bboxSF_14bbox_reductionEE10hipError_tPvRmT1_T2_T3_mT4_P12ihipStream_tbEUlT_E1_NS1_11comp_targetILNS1_3genE2ELNS1_11target_archE906ELNS1_3gpuE6ELNS1_3repE0EEENS1_30default_config_static_selectorELNS0_4arch9wavefront6targetE1EEEvSL_.uses_vcc, 1
	.set _ZN7rocprim17ROCPRIM_400000_NS6detail17trampoline_kernelINS0_14default_configENS1_22reduce_config_selectorI7point2dEEZNS1_11reduce_implILb1ES3_N6thrust23THRUST_200600_302600_NS6detail15normal_iteratorINS9_10device_ptrIS5_EEEEP4bboxSF_14bbox_reductionEE10hipError_tPvRmT1_T2_T3_mT4_P12ihipStream_tbEUlT_E1_NS1_11comp_targetILNS1_3genE2ELNS1_11target_archE906ELNS1_3gpuE6ELNS1_3repE0EEENS1_30default_config_static_selectorELNS0_4arch9wavefront6targetE1EEEvSL_.uses_flat_scratch, 0
	.set _ZN7rocprim17ROCPRIM_400000_NS6detail17trampoline_kernelINS0_14default_configENS1_22reduce_config_selectorI7point2dEEZNS1_11reduce_implILb1ES3_N6thrust23THRUST_200600_302600_NS6detail15normal_iteratorINS9_10device_ptrIS5_EEEEP4bboxSF_14bbox_reductionEE10hipError_tPvRmT1_T2_T3_mT4_P12ihipStream_tbEUlT_E1_NS1_11comp_targetILNS1_3genE2ELNS1_11target_archE906ELNS1_3gpuE6ELNS1_3repE0EEENS1_30default_config_static_selectorELNS0_4arch9wavefront6targetE1EEEvSL_.has_dyn_sized_stack, 0
	.set _ZN7rocprim17ROCPRIM_400000_NS6detail17trampoline_kernelINS0_14default_configENS1_22reduce_config_selectorI7point2dEEZNS1_11reduce_implILb1ES3_N6thrust23THRUST_200600_302600_NS6detail15normal_iteratorINS9_10device_ptrIS5_EEEEP4bboxSF_14bbox_reductionEE10hipError_tPvRmT1_T2_T3_mT4_P12ihipStream_tbEUlT_E1_NS1_11comp_targetILNS1_3genE2ELNS1_11target_archE906ELNS1_3gpuE6ELNS1_3repE0EEENS1_30default_config_static_selectorELNS0_4arch9wavefront6targetE1EEEvSL_.has_recursion, 0
	.set _ZN7rocprim17ROCPRIM_400000_NS6detail17trampoline_kernelINS0_14default_configENS1_22reduce_config_selectorI7point2dEEZNS1_11reduce_implILb1ES3_N6thrust23THRUST_200600_302600_NS6detail15normal_iteratorINS9_10device_ptrIS5_EEEEP4bboxSF_14bbox_reductionEE10hipError_tPvRmT1_T2_T3_mT4_P12ihipStream_tbEUlT_E1_NS1_11comp_targetILNS1_3genE2ELNS1_11target_archE906ELNS1_3gpuE6ELNS1_3repE0EEENS1_30default_config_static_selectorELNS0_4arch9wavefront6targetE1EEEvSL_.has_indirect_call, 0
	.section	.AMDGPU.csdata,"",@progbits
; Kernel info:
; codeLenInByte = 14952
; TotalNumSgprs: 53
; NumVgprs: 37
; ScratchSize: 0
; MemoryBound: 0
; FloatMode: 240
; IeeeMode: 1
; LDSByteSize: 384 bytes/workgroup (compile time only)
; SGPRBlocks: 6
; VGPRBlocks: 9
; NumSGPRsForWavesPerEU: 53
; NumVGPRsForWavesPerEU: 37
; Occupancy: 6
; WaveLimiterHint : 1
; COMPUTE_PGM_RSRC2:SCRATCH_EN: 0
; COMPUTE_PGM_RSRC2:USER_SGPR: 6
; COMPUTE_PGM_RSRC2:TRAP_HANDLER: 0
; COMPUTE_PGM_RSRC2:TGID_X_EN: 1
; COMPUTE_PGM_RSRC2:TGID_Y_EN: 0
; COMPUTE_PGM_RSRC2:TGID_Z_EN: 0
; COMPUTE_PGM_RSRC2:TIDIG_COMP_CNT: 0
	.section	.text._ZN7rocprim17ROCPRIM_400000_NS6detail17trampoline_kernelINS0_14default_configENS1_22reduce_config_selectorI7point2dEEZNS1_11reduce_implILb1ES3_N6thrust23THRUST_200600_302600_NS6detail15normal_iteratorINS9_10device_ptrIS5_EEEEP4bboxSF_14bbox_reductionEE10hipError_tPvRmT1_T2_T3_mT4_P12ihipStream_tbEUlT_E1_NS1_11comp_targetILNS1_3genE10ELNS1_11target_archE1201ELNS1_3gpuE5ELNS1_3repE0EEENS1_30default_config_static_selectorELNS0_4arch9wavefront6targetE1EEEvSL_,"axG",@progbits,_ZN7rocprim17ROCPRIM_400000_NS6detail17trampoline_kernelINS0_14default_configENS1_22reduce_config_selectorI7point2dEEZNS1_11reduce_implILb1ES3_N6thrust23THRUST_200600_302600_NS6detail15normal_iteratorINS9_10device_ptrIS5_EEEEP4bboxSF_14bbox_reductionEE10hipError_tPvRmT1_T2_T3_mT4_P12ihipStream_tbEUlT_E1_NS1_11comp_targetILNS1_3genE10ELNS1_11target_archE1201ELNS1_3gpuE5ELNS1_3repE0EEENS1_30default_config_static_selectorELNS0_4arch9wavefront6targetE1EEEvSL_,comdat
	.protected	_ZN7rocprim17ROCPRIM_400000_NS6detail17trampoline_kernelINS0_14default_configENS1_22reduce_config_selectorI7point2dEEZNS1_11reduce_implILb1ES3_N6thrust23THRUST_200600_302600_NS6detail15normal_iteratorINS9_10device_ptrIS5_EEEEP4bboxSF_14bbox_reductionEE10hipError_tPvRmT1_T2_T3_mT4_P12ihipStream_tbEUlT_E1_NS1_11comp_targetILNS1_3genE10ELNS1_11target_archE1201ELNS1_3gpuE5ELNS1_3repE0EEENS1_30default_config_static_selectorELNS0_4arch9wavefront6targetE1EEEvSL_ ; -- Begin function _ZN7rocprim17ROCPRIM_400000_NS6detail17trampoline_kernelINS0_14default_configENS1_22reduce_config_selectorI7point2dEEZNS1_11reduce_implILb1ES3_N6thrust23THRUST_200600_302600_NS6detail15normal_iteratorINS9_10device_ptrIS5_EEEEP4bboxSF_14bbox_reductionEE10hipError_tPvRmT1_T2_T3_mT4_P12ihipStream_tbEUlT_E1_NS1_11comp_targetILNS1_3genE10ELNS1_11target_archE1201ELNS1_3gpuE5ELNS1_3repE0EEENS1_30default_config_static_selectorELNS0_4arch9wavefront6targetE1EEEvSL_
	.globl	_ZN7rocprim17ROCPRIM_400000_NS6detail17trampoline_kernelINS0_14default_configENS1_22reduce_config_selectorI7point2dEEZNS1_11reduce_implILb1ES3_N6thrust23THRUST_200600_302600_NS6detail15normal_iteratorINS9_10device_ptrIS5_EEEEP4bboxSF_14bbox_reductionEE10hipError_tPvRmT1_T2_T3_mT4_P12ihipStream_tbEUlT_E1_NS1_11comp_targetILNS1_3genE10ELNS1_11target_archE1201ELNS1_3gpuE5ELNS1_3repE0EEENS1_30default_config_static_selectorELNS0_4arch9wavefront6targetE1EEEvSL_
	.p2align	8
	.type	_ZN7rocprim17ROCPRIM_400000_NS6detail17trampoline_kernelINS0_14default_configENS1_22reduce_config_selectorI7point2dEEZNS1_11reduce_implILb1ES3_N6thrust23THRUST_200600_302600_NS6detail15normal_iteratorINS9_10device_ptrIS5_EEEEP4bboxSF_14bbox_reductionEE10hipError_tPvRmT1_T2_T3_mT4_P12ihipStream_tbEUlT_E1_NS1_11comp_targetILNS1_3genE10ELNS1_11target_archE1201ELNS1_3gpuE5ELNS1_3repE0EEENS1_30default_config_static_selectorELNS0_4arch9wavefront6targetE1EEEvSL_,@function
_ZN7rocprim17ROCPRIM_400000_NS6detail17trampoline_kernelINS0_14default_configENS1_22reduce_config_selectorI7point2dEEZNS1_11reduce_implILb1ES3_N6thrust23THRUST_200600_302600_NS6detail15normal_iteratorINS9_10device_ptrIS5_EEEEP4bboxSF_14bbox_reductionEE10hipError_tPvRmT1_T2_T3_mT4_P12ihipStream_tbEUlT_E1_NS1_11comp_targetILNS1_3genE10ELNS1_11target_archE1201ELNS1_3gpuE5ELNS1_3repE0EEENS1_30default_config_static_selectorELNS0_4arch9wavefront6targetE1EEEvSL_: ; @_ZN7rocprim17ROCPRIM_400000_NS6detail17trampoline_kernelINS0_14default_configENS1_22reduce_config_selectorI7point2dEEZNS1_11reduce_implILb1ES3_N6thrust23THRUST_200600_302600_NS6detail15normal_iteratorINS9_10device_ptrIS5_EEEEP4bboxSF_14bbox_reductionEE10hipError_tPvRmT1_T2_T3_mT4_P12ihipStream_tbEUlT_E1_NS1_11comp_targetILNS1_3genE10ELNS1_11target_archE1201ELNS1_3gpuE5ELNS1_3repE0EEENS1_30default_config_static_selectorELNS0_4arch9wavefront6targetE1EEEvSL_
; %bb.0:
	.section	.rodata,"a",@progbits
	.p2align	6, 0x0
	.amdhsa_kernel _ZN7rocprim17ROCPRIM_400000_NS6detail17trampoline_kernelINS0_14default_configENS1_22reduce_config_selectorI7point2dEEZNS1_11reduce_implILb1ES3_N6thrust23THRUST_200600_302600_NS6detail15normal_iteratorINS9_10device_ptrIS5_EEEEP4bboxSF_14bbox_reductionEE10hipError_tPvRmT1_T2_T3_mT4_P12ihipStream_tbEUlT_E1_NS1_11comp_targetILNS1_3genE10ELNS1_11target_archE1201ELNS1_3gpuE5ELNS1_3repE0EEENS1_30default_config_static_selectorELNS0_4arch9wavefront6targetE1EEEvSL_
		.amdhsa_group_segment_fixed_size 0
		.amdhsa_private_segment_fixed_size 0
		.amdhsa_kernarg_size 56
		.amdhsa_user_sgpr_count 6
		.amdhsa_user_sgpr_private_segment_buffer 1
		.amdhsa_user_sgpr_dispatch_ptr 0
		.amdhsa_user_sgpr_queue_ptr 0
		.amdhsa_user_sgpr_kernarg_segment_ptr 1
		.amdhsa_user_sgpr_dispatch_id 0
		.amdhsa_user_sgpr_flat_scratch_init 0
		.amdhsa_user_sgpr_private_segment_size 0
		.amdhsa_uses_dynamic_stack 0
		.amdhsa_system_sgpr_private_segment_wavefront_offset 0
		.amdhsa_system_sgpr_workgroup_id_x 1
		.amdhsa_system_sgpr_workgroup_id_y 0
		.amdhsa_system_sgpr_workgroup_id_z 0
		.amdhsa_system_sgpr_workgroup_info 0
		.amdhsa_system_vgpr_workitem_id 0
		.amdhsa_next_free_vgpr 1
		.amdhsa_next_free_sgpr 0
		.amdhsa_reserve_vcc 0
		.amdhsa_reserve_flat_scratch 0
		.amdhsa_float_round_mode_32 0
		.amdhsa_float_round_mode_16_64 0
		.amdhsa_float_denorm_mode_32 3
		.amdhsa_float_denorm_mode_16_64 3
		.amdhsa_dx10_clamp 1
		.amdhsa_ieee_mode 1
		.amdhsa_fp16_overflow 0
		.amdhsa_exception_fp_ieee_invalid_op 0
		.amdhsa_exception_fp_denorm_src 0
		.amdhsa_exception_fp_ieee_div_zero 0
		.amdhsa_exception_fp_ieee_overflow 0
		.amdhsa_exception_fp_ieee_underflow 0
		.amdhsa_exception_fp_ieee_inexact 0
		.amdhsa_exception_int_div_zero 0
	.end_amdhsa_kernel
	.section	.text._ZN7rocprim17ROCPRIM_400000_NS6detail17trampoline_kernelINS0_14default_configENS1_22reduce_config_selectorI7point2dEEZNS1_11reduce_implILb1ES3_N6thrust23THRUST_200600_302600_NS6detail15normal_iteratorINS9_10device_ptrIS5_EEEEP4bboxSF_14bbox_reductionEE10hipError_tPvRmT1_T2_T3_mT4_P12ihipStream_tbEUlT_E1_NS1_11comp_targetILNS1_3genE10ELNS1_11target_archE1201ELNS1_3gpuE5ELNS1_3repE0EEENS1_30default_config_static_selectorELNS0_4arch9wavefront6targetE1EEEvSL_,"axG",@progbits,_ZN7rocprim17ROCPRIM_400000_NS6detail17trampoline_kernelINS0_14default_configENS1_22reduce_config_selectorI7point2dEEZNS1_11reduce_implILb1ES3_N6thrust23THRUST_200600_302600_NS6detail15normal_iteratorINS9_10device_ptrIS5_EEEEP4bboxSF_14bbox_reductionEE10hipError_tPvRmT1_T2_T3_mT4_P12ihipStream_tbEUlT_E1_NS1_11comp_targetILNS1_3genE10ELNS1_11target_archE1201ELNS1_3gpuE5ELNS1_3repE0EEENS1_30default_config_static_selectorELNS0_4arch9wavefront6targetE1EEEvSL_,comdat
.Lfunc_end34:
	.size	_ZN7rocprim17ROCPRIM_400000_NS6detail17trampoline_kernelINS0_14default_configENS1_22reduce_config_selectorI7point2dEEZNS1_11reduce_implILb1ES3_N6thrust23THRUST_200600_302600_NS6detail15normal_iteratorINS9_10device_ptrIS5_EEEEP4bboxSF_14bbox_reductionEE10hipError_tPvRmT1_T2_T3_mT4_P12ihipStream_tbEUlT_E1_NS1_11comp_targetILNS1_3genE10ELNS1_11target_archE1201ELNS1_3gpuE5ELNS1_3repE0EEENS1_30default_config_static_selectorELNS0_4arch9wavefront6targetE1EEEvSL_, .Lfunc_end34-_ZN7rocprim17ROCPRIM_400000_NS6detail17trampoline_kernelINS0_14default_configENS1_22reduce_config_selectorI7point2dEEZNS1_11reduce_implILb1ES3_N6thrust23THRUST_200600_302600_NS6detail15normal_iteratorINS9_10device_ptrIS5_EEEEP4bboxSF_14bbox_reductionEE10hipError_tPvRmT1_T2_T3_mT4_P12ihipStream_tbEUlT_E1_NS1_11comp_targetILNS1_3genE10ELNS1_11target_archE1201ELNS1_3gpuE5ELNS1_3repE0EEENS1_30default_config_static_selectorELNS0_4arch9wavefront6targetE1EEEvSL_
                                        ; -- End function
	.set _ZN7rocprim17ROCPRIM_400000_NS6detail17trampoline_kernelINS0_14default_configENS1_22reduce_config_selectorI7point2dEEZNS1_11reduce_implILb1ES3_N6thrust23THRUST_200600_302600_NS6detail15normal_iteratorINS9_10device_ptrIS5_EEEEP4bboxSF_14bbox_reductionEE10hipError_tPvRmT1_T2_T3_mT4_P12ihipStream_tbEUlT_E1_NS1_11comp_targetILNS1_3genE10ELNS1_11target_archE1201ELNS1_3gpuE5ELNS1_3repE0EEENS1_30default_config_static_selectorELNS0_4arch9wavefront6targetE1EEEvSL_.num_vgpr, 0
	.set _ZN7rocprim17ROCPRIM_400000_NS6detail17trampoline_kernelINS0_14default_configENS1_22reduce_config_selectorI7point2dEEZNS1_11reduce_implILb1ES3_N6thrust23THRUST_200600_302600_NS6detail15normal_iteratorINS9_10device_ptrIS5_EEEEP4bboxSF_14bbox_reductionEE10hipError_tPvRmT1_T2_T3_mT4_P12ihipStream_tbEUlT_E1_NS1_11comp_targetILNS1_3genE10ELNS1_11target_archE1201ELNS1_3gpuE5ELNS1_3repE0EEENS1_30default_config_static_selectorELNS0_4arch9wavefront6targetE1EEEvSL_.num_agpr, 0
	.set _ZN7rocprim17ROCPRIM_400000_NS6detail17trampoline_kernelINS0_14default_configENS1_22reduce_config_selectorI7point2dEEZNS1_11reduce_implILb1ES3_N6thrust23THRUST_200600_302600_NS6detail15normal_iteratorINS9_10device_ptrIS5_EEEEP4bboxSF_14bbox_reductionEE10hipError_tPvRmT1_T2_T3_mT4_P12ihipStream_tbEUlT_E1_NS1_11comp_targetILNS1_3genE10ELNS1_11target_archE1201ELNS1_3gpuE5ELNS1_3repE0EEENS1_30default_config_static_selectorELNS0_4arch9wavefront6targetE1EEEvSL_.numbered_sgpr, 0
	.set _ZN7rocprim17ROCPRIM_400000_NS6detail17trampoline_kernelINS0_14default_configENS1_22reduce_config_selectorI7point2dEEZNS1_11reduce_implILb1ES3_N6thrust23THRUST_200600_302600_NS6detail15normal_iteratorINS9_10device_ptrIS5_EEEEP4bboxSF_14bbox_reductionEE10hipError_tPvRmT1_T2_T3_mT4_P12ihipStream_tbEUlT_E1_NS1_11comp_targetILNS1_3genE10ELNS1_11target_archE1201ELNS1_3gpuE5ELNS1_3repE0EEENS1_30default_config_static_selectorELNS0_4arch9wavefront6targetE1EEEvSL_.num_named_barrier, 0
	.set _ZN7rocprim17ROCPRIM_400000_NS6detail17trampoline_kernelINS0_14default_configENS1_22reduce_config_selectorI7point2dEEZNS1_11reduce_implILb1ES3_N6thrust23THRUST_200600_302600_NS6detail15normal_iteratorINS9_10device_ptrIS5_EEEEP4bboxSF_14bbox_reductionEE10hipError_tPvRmT1_T2_T3_mT4_P12ihipStream_tbEUlT_E1_NS1_11comp_targetILNS1_3genE10ELNS1_11target_archE1201ELNS1_3gpuE5ELNS1_3repE0EEENS1_30default_config_static_selectorELNS0_4arch9wavefront6targetE1EEEvSL_.private_seg_size, 0
	.set _ZN7rocprim17ROCPRIM_400000_NS6detail17trampoline_kernelINS0_14default_configENS1_22reduce_config_selectorI7point2dEEZNS1_11reduce_implILb1ES3_N6thrust23THRUST_200600_302600_NS6detail15normal_iteratorINS9_10device_ptrIS5_EEEEP4bboxSF_14bbox_reductionEE10hipError_tPvRmT1_T2_T3_mT4_P12ihipStream_tbEUlT_E1_NS1_11comp_targetILNS1_3genE10ELNS1_11target_archE1201ELNS1_3gpuE5ELNS1_3repE0EEENS1_30default_config_static_selectorELNS0_4arch9wavefront6targetE1EEEvSL_.uses_vcc, 0
	.set _ZN7rocprim17ROCPRIM_400000_NS6detail17trampoline_kernelINS0_14default_configENS1_22reduce_config_selectorI7point2dEEZNS1_11reduce_implILb1ES3_N6thrust23THRUST_200600_302600_NS6detail15normal_iteratorINS9_10device_ptrIS5_EEEEP4bboxSF_14bbox_reductionEE10hipError_tPvRmT1_T2_T3_mT4_P12ihipStream_tbEUlT_E1_NS1_11comp_targetILNS1_3genE10ELNS1_11target_archE1201ELNS1_3gpuE5ELNS1_3repE0EEENS1_30default_config_static_selectorELNS0_4arch9wavefront6targetE1EEEvSL_.uses_flat_scratch, 0
	.set _ZN7rocprim17ROCPRIM_400000_NS6detail17trampoline_kernelINS0_14default_configENS1_22reduce_config_selectorI7point2dEEZNS1_11reduce_implILb1ES3_N6thrust23THRUST_200600_302600_NS6detail15normal_iteratorINS9_10device_ptrIS5_EEEEP4bboxSF_14bbox_reductionEE10hipError_tPvRmT1_T2_T3_mT4_P12ihipStream_tbEUlT_E1_NS1_11comp_targetILNS1_3genE10ELNS1_11target_archE1201ELNS1_3gpuE5ELNS1_3repE0EEENS1_30default_config_static_selectorELNS0_4arch9wavefront6targetE1EEEvSL_.has_dyn_sized_stack, 0
	.set _ZN7rocprim17ROCPRIM_400000_NS6detail17trampoline_kernelINS0_14default_configENS1_22reduce_config_selectorI7point2dEEZNS1_11reduce_implILb1ES3_N6thrust23THRUST_200600_302600_NS6detail15normal_iteratorINS9_10device_ptrIS5_EEEEP4bboxSF_14bbox_reductionEE10hipError_tPvRmT1_T2_T3_mT4_P12ihipStream_tbEUlT_E1_NS1_11comp_targetILNS1_3genE10ELNS1_11target_archE1201ELNS1_3gpuE5ELNS1_3repE0EEENS1_30default_config_static_selectorELNS0_4arch9wavefront6targetE1EEEvSL_.has_recursion, 0
	.set _ZN7rocprim17ROCPRIM_400000_NS6detail17trampoline_kernelINS0_14default_configENS1_22reduce_config_selectorI7point2dEEZNS1_11reduce_implILb1ES3_N6thrust23THRUST_200600_302600_NS6detail15normal_iteratorINS9_10device_ptrIS5_EEEEP4bboxSF_14bbox_reductionEE10hipError_tPvRmT1_T2_T3_mT4_P12ihipStream_tbEUlT_E1_NS1_11comp_targetILNS1_3genE10ELNS1_11target_archE1201ELNS1_3gpuE5ELNS1_3repE0EEENS1_30default_config_static_selectorELNS0_4arch9wavefront6targetE1EEEvSL_.has_indirect_call, 0
	.section	.AMDGPU.csdata,"",@progbits
; Kernel info:
; codeLenInByte = 0
; TotalNumSgprs: 4
; NumVgprs: 0
; ScratchSize: 0
; MemoryBound: 0
; FloatMode: 240
; IeeeMode: 1
; LDSByteSize: 0 bytes/workgroup (compile time only)
; SGPRBlocks: 0
; VGPRBlocks: 0
; NumSGPRsForWavesPerEU: 4
; NumVGPRsForWavesPerEU: 1
; Occupancy: 10
; WaveLimiterHint : 0
; COMPUTE_PGM_RSRC2:SCRATCH_EN: 0
; COMPUTE_PGM_RSRC2:USER_SGPR: 6
; COMPUTE_PGM_RSRC2:TRAP_HANDLER: 0
; COMPUTE_PGM_RSRC2:TGID_X_EN: 1
; COMPUTE_PGM_RSRC2:TGID_Y_EN: 0
; COMPUTE_PGM_RSRC2:TGID_Z_EN: 0
; COMPUTE_PGM_RSRC2:TIDIG_COMP_CNT: 0
	.section	.text._ZN7rocprim17ROCPRIM_400000_NS6detail17trampoline_kernelINS0_14default_configENS1_22reduce_config_selectorI7point2dEEZNS1_11reduce_implILb1ES3_N6thrust23THRUST_200600_302600_NS6detail15normal_iteratorINS9_10device_ptrIS5_EEEEP4bboxSF_14bbox_reductionEE10hipError_tPvRmT1_T2_T3_mT4_P12ihipStream_tbEUlT_E1_NS1_11comp_targetILNS1_3genE10ELNS1_11target_archE1200ELNS1_3gpuE4ELNS1_3repE0EEENS1_30default_config_static_selectorELNS0_4arch9wavefront6targetE1EEEvSL_,"axG",@progbits,_ZN7rocprim17ROCPRIM_400000_NS6detail17trampoline_kernelINS0_14default_configENS1_22reduce_config_selectorI7point2dEEZNS1_11reduce_implILb1ES3_N6thrust23THRUST_200600_302600_NS6detail15normal_iteratorINS9_10device_ptrIS5_EEEEP4bboxSF_14bbox_reductionEE10hipError_tPvRmT1_T2_T3_mT4_P12ihipStream_tbEUlT_E1_NS1_11comp_targetILNS1_3genE10ELNS1_11target_archE1200ELNS1_3gpuE4ELNS1_3repE0EEENS1_30default_config_static_selectorELNS0_4arch9wavefront6targetE1EEEvSL_,comdat
	.protected	_ZN7rocprim17ROCPRIM_400000_NS6detail17trampoline_kernelINS0_14default_configENS1_22reduce_config_selectorI7point2dEEZNS1_11reduce_implILb1ES3_N6thrust23THRUST_200600_302600_NS6detail15normal_iteratorINS9_10device_ptrIS5_EEEEP4bboxSF_14bbox_reductionEE10hipError_tPvRmT1_T2_T3_mT4_P12ihipStream_tbEUlT_E1_NS1_11comp_targetILNS1_3genE10ELNS1_11target_archE1200ELNS1_3gpuE4ELNS1_3repE0EEENS1_30default_config_static_selectorELNS0_4arch9wavefront6targetE1EEEvSL_ ; -- Begin function _ZN7rocprim17ROCPRIM_400000_NS6detail17trampoline_kernelINS0_14default_configENS1_22reduce_config_selectorI7point2dEEZNS1_11reduce_implILb1ES3_N6thrust23THRUST_200600_302600_NS6detail15normal_iteratorINS9_10device_ptrIS5_EEEEP4bboxSF_14bbox_reductionEE10hipError_tPvRmT1_T2_T3_mT4_P12ihipStream_tbEUlT_E1_NS1_11comp_targetILNS1_3genE10ELNS1_11target_archE1200ELNS1_3gpuE4ELNS1_3repE0EEENS1_30default_config_static_selectorELNS0_4arch9wavefront6targetE1EEEvSL_
	.globl	_ZN7rocprim17ROCPRIM_400000_NS6detail17trampoline_kernelINS0_14default_configENS1_22reduce_config_selectorI7point2dEEZNS1_11reduce_implILb1ES3_N6thrust23THRUST_200600_302600_NS6detail15normal_iteratorINS9_10device_ptrIS5_EEEEP4bboxSF_14bbox_reductionEE10hipError_tPvRmT1_T2_T3_mT4_P12ihipStream_tbEUlT_E1_NS1_11comp_targetILNS1_3genE10ELNS1_11target_archE1200ELNS1_3gpuE4ELNS1_3repE0EEENS1_30default_config_static_selectorELNS0_4arch9wavefront6targetE1EEEvSL_
	.p2align	8
	.type	_ZN7rocprim17ROCPRIM_400000_NS6detail17trampoline_kernelINS0_14default_configENS1_22reduce_config_selectorI7point2dEEZNS1_11reduce_implILb1ES3_N6thrust23THRUST_200600_302600_NS6detail15normal_iteratorINS9_10device_ptrIS5_EEEEP4bboxSF_14bbox_reductionEE10hipError_tPvRmT1_T2_T3_mT4_P12ihipStream_tbEUlT_E1_NS1_11comp_targetILNS1_3genE10ELNS1_11target_archE1200ELNS1_3gpuE4ELNS1_3repE0EEENS1_30default_config_static_selectorELNS0_4arch9wavefront6targetE1EEEvSL_,@function
_ZN7rocprim17ROCPRIM_400000_NS6detail17trampoline_kernelINS0_14default_configENS1_22reduce_config_selectorI7point2dEEZNS1_11reduce_implILb1ES3_N6thrust23THRUST_200600_302600_NS6detail15normal_iteratorINS9_10device_ptrIS5_EEEEP4bboxSF_14bbox_reductionEE10hipError_tPvRmT1_T2_T3_mT4_P12ihipStream_tbEUlT_E1_NS1_11comp_targetILNS1_3genE10ELNS1_11target_archE1200ELNS1_3gpuE4ELNS1_3repE0EEENS1_30default_config_static_selectorELNS0_4arch9wavefront6targetE1EEEvSL_: ; @_ZN7rocprim17ROCPRIM_400000_NS6detail17trampoline_kernelINS0_14default_configENS1_22reduce_config_selectorI7point2dEEZNS1_11reduce_implILb1ES3_N6thrust23THRUST_200600_302600_NS6detail15normal_iteratorINS9_10device_ptrIS5_EEEEP4bboxSF_14bbox_reductionEE10hipError_tPvRmT1_T2_T3_mT4_P12ihipStream_tbEUlT_E1_NS1_11comp_targetILNS1_3genE10ELNS1_11target_archE1200ELNS1_3gpuE4ELNS1_3repE0EEENS1_30default_config_static_selectorELNS0_4arch9wavefront6targetE1EEEvSL_
; %bb.0:
	.section	.rodata,"a",@progbits
	.p2align	6, 0x0
	.amdhsa_kernel _ZN7rocprim17ROCPRIM_400000_NS6detail17trampoline_kernelINS0_14default_configENS1_22reduce_config_selectorI7point2dEEZNS1_11reduce_implILb1ES3_N6thrust23THRUST_200600_302600_NS6detail15normal_iteratorINS9_10device_ptrIS5_EEEEP4bboxSF_14bbox_reductionEE10hipError_tPvRmT1_T2_T3_mT4_P12ihipStream_tbEUlT_E1_NS1_11comp_targetILNS1_3genE10ELNS1_11target_archE1200ELNS1_3gpuE4ELNS1_3repE0EEENS1_30default_config_static_selectorELNS0_4arch9wavefront6targetE1EEEvSL_
		.amdhsa_group_segment_fixed_size 0
		.amdhsa_private_segment_fixed_size 0
		.amdhsa_kernarg_size 56
		.amdhsa_user_sgpr_count 6
		.amdhsa_user_sgpr_private_segment_buffer 1
		.amdhsa_user_sgpr_dispatch_ptr 0
		.amdhsa_user_sgpr_queue_ptr 0
		.amdhsa_user_sgpr_kernarg_segment_ptr 1
		.amdhsa_user_sgpr_dispatch_id 0
		.amdhsa_user_sgpr_flat_scratch_init 0
		.amdhsa_user_sgpr_private_segment_size 0
		.amdhsa_uses_dynamic_stack 0
		.amdhsa_system_sgpr_private_segment_wavefront_offset 0
		.amdhsa_system_sgpr_workgroup_id_x 1
		.amdhsa_system_sgpr_workgroup_id_y 0
		.amdhsa_system_sgpr_workgroup_id_z 0
		.amdhsa_system_sgpr_workgroup_info 0
		.amdhsa_system_vgpr_workitem_id 0
		.amdhsa_next_free_vgpr 1
		.amdhsa_next_free_sgpr 0
		.amdhsa_reserve_vcc 0
		.amdhsa_reserve_flat_scratch 0
		.amdhsa_float_round_mode_32 0
		.amdhsa_float_round_mode_16_64 0
		.amdhsa_float_denorm_mode_32 3
		.amdhsa_float_denorm_mode_16_64 3
		.amdhsa_dx10_clamp 1
		.amdhsa_ieee_mode 1
		.amdhsa_fp16_overflow 0
		.amdhsa_exception_fp_ieee_invalid_op 0
		.amdhsa_exception_fp_denorm_src 0
		.amdhsa_exception_fp_ieee_div_zero 0
		.amdhsa_exception_fp_ieee_overflow 0
		.amdhsa_exception_fp_ieee_underflow 0
		.amdhsa_exception_fp_ieee_inexact 0
		.amdhsa_exception_int_div_zero 0
	.end_amdhsa_kernel
	.section	.text._ZN7rocprim17ROCPRIM_400000_NS6detail17trampoline_kernelINS0_14default_configENS1_22reduce_config_selectorI7point2dEEZNS1_11reduce_implILb1ES3_N6thrust23THRUST_200600_302600_NS6detail15normal_iteratorINS9_10device_ptrIS5_EEEEP4bboxSF_14bbox_reductionEE10hipError_tPvRmT1_T2_T3_mT4_P12ihipStream_tbEUlT_E1_NS1_11comp_targetILNS1_3genE10ELNS1_11target_archE1200ELNS1_3gpuE4ELNS1_3repE0EEENS1_30default_config_static_selectorELNS0_4arch9wavefront6targetE1EEEvSL_,"axG",@progbits,_ZN7rocprim17ROCPRIM_400000_NS6detail17trampoline_kernelINS0_14default_configENS1_22reduce_config_selectorI7point2dEEZNS1_11reduce_implILb1ES3_N6thrust23THRUST_200600_302600_NS6detail15normal_iteratorINS9_10device_ptrIS5_EEEEP4bboxSF_14bbox_reductionEE10hipError_tPvRmT1_T2_T3_mT4_P12ihipStream_tbEUlT_E1_NS1_11comp_targetILNS1_3genE10ELNS1_11target_archE1200ELNS1_3gpuE4ELNS1_3repE0EEENS1_30default_config_static_selectorELNS0_4arch9wavefront6targetE1EEEvSL_,comdat
.Lfunc_end35:
	.size	_ZN7rocprim17ROCPRIM_400000_NS6detail17trampoline_kernelINS0_14default_configENS1_22reduce_config_selectorI7point2dEEZNS1_11reduce_implILb1ES3_N6thrust23THRUST_200600_302600_NS6detail15normal_iteratorINS9_10device_ptrIS5_EEEEP4bboxSF_14bbox_reductionEE10hipError_tPvRmT1_T2_T3_mT4_P12ihipStream_tbEUlT_E1_NS1_11comp_targetILNS1_3genE10ELNS1_11target_archE1200ELNS1_3gpuE4ELNS1_3repE0EEENS1_30default_config_static_selectorELNS0_4arch9wavefront6targetE1EEEvSL_, .Lfunc_end35-_ZN7rocprim17ROCPRIM_400000_NS6detail17trampoline_kernelINS0_14default_configENS1_22reduce_config_selectorI7point2dEEZNS1_11reduce_implILb1ES3_N6thrust23THRUST_200600_302600_NS6detail15normal_iteratorINS9_10device_ptrIS5_EEEEP4bboxSF_14bbox_reductionEE10hipError_tPvRmT1_T2_T3_mT4_P12ihipStream_tbEUlT_E1_NS1_11comp_targetILNS1_3genE10ELNS1_11target_archE1200ELNS1_3gpuE4ELNS1_3repE0EEENS1_30default_config_static_selectorELNS0_4arch9wavefront6targetE1EEEvSL_
                                        ; -- End function
	.set _ZN7rocprim17ROCPRIM_400000_NS6detail17trampoline_kernelINS0_14default_configENS1_22reduce_config_selectorI7point2dEEZNS1_11reduce_implILb1ES3_N6thrust23THRUST_200600_302600_NS6detail15normal_iteratorINS9_10device_ptrIS5_EEEEP4bboxSF_14bbox_reductionEE10hipError_tPvRmT1_T2_T3_mT4_P12ihipStream_tbEUlT_E1_NS1_11comp_targetILNS1_3genE10ELNS1_11target_archE1200ELNS1_3gpuE4ELNS1_3repE0EEENS1_30default_config_static_selectorELNS0_4arch9wavefront6targetE1EEEvSL_.num_vgpr, 0
	.set _ZN7rocprim17ROCPRIM_400000_NS6detail17trampoline_kernelINS0_14default_configENS1_22reduce_config_selectorI7point2dEEZNS1_11reduce_implILb1ES3_N6thrust23THRUST_200600_302600_NS6detail15normal_iteratorINS9_10device_ptrIS5_EEEEP4bboxSF_14bbox_reductionEE10hipError_tPvRmT1_T2_T3_mT4_P12ihipStream_tbEUlT_E1_NS1_11comp_targetILNS1_3genE10ELNS1_11target_archE1200ELNS1_3gpuE4ELNS1_3repE0EEENS1_30default_config_static_selectorELNS0_4arch9wavefront6targetE1EEEvSL_.num_agpr, 0
	.set _ZN7rocprim17ROCPRIM_400000_NS6detail17trampoline_kernelINS0_14default_configENS1_22reduce_config_selectorI7point2dEEZNS1_11reduce_implILb1ES3_N6thrust23THRUST_200600_302600_NS6detail15normal_iteratorINS9_10device_ptrIS5_EEEEP4bboxSF_14bbox_reductionEE10hipError_tPvRmT1_T2_T3_mT4_P12ihipStream_tbEUlT_E1_NS1_11comp_targetILNS1_3genE10ELNS1_11target_archE1200ELNS1_3gpuE4ELNS1_3repE0EEENS1_30default_config_static_selectorELNS0_4arch9wavefront6targetE1EEEvSL_.numbered_sgpr, 0
	.set _ZN7rocprim17ROCPRIM_400000_NS6detail17trampoline_kernelINS0_14default_configENS1_22reduce_config_selectorI7point2dEEZNS1_11reduce_implILb1ES3_N6thrust23THRUST_200600_302600_NS6detail15normal_iteratorINS9_10device_ptrIS5_EEEEP4bboxSF_14bbox_reductionEE10hipError_tPvRmT1_T2_T3_mT4_P12ihipStream_tbEUlT_E1_NS1_11comp_targetILNS1_3genE10ELNS1_11target_archE1200ELNS1_3gpuE4ELNS1_3repE0EEENS1_30default_config_static_selectorELNS0_4arch9wavefront6targetE1EEEvSL_.num_named_barrier, 0
	.set _ZN7rocprim17ROCPRIM_400000_NS6detail17trampoline_kernelINS0_14default_configENS1_22reduce_config_selectorI7point2dEEZNS1_11reduce_implILb1ES3_N6thrust23THRUST_200600_302600_NS6detail15normal_iteratorINS9_10device_ptrIS5_EEEEP4bboxSF_14bbox_reductionEE10hipError_tPvRmT1_T2_T3_mT4_P12ihipStream_tbEUlT_E1_NS1_11comp_targetILNS1_3genE10ELNS1_11target_archE1200ELNS1_3gpuE4ELNS1_3repE0EEENS1_30default_config_static_selectorELNS0_4arch9wavefront6targetE1EEEvSL_.private_seg_size, 0
	.set _ZN7rocprim17ROCPRIM_400000_NS6detail17trampoline_kernelINS0_14default_configENS1_22reduce_config_selectorI7point2dEEZNS1_11reduce_implILb1ES3_N6thrust23THRUST_200600_302600_NS6detail15normal_iteratorINS9_10device_ptrIS5_EEEEP4bboxSF_14bbox_reductionEE10hipError_tPvRmT1_T2_T3_mT4_P12ihipStream_tbEUlT_E1_NS1_11comp_targetILNS1_3genE10ELNS1_11target_archE1200ELNS1_3gpuE4ELNS1_3repE0EEENS1_30default_config_static_selectorELNS0_4arch9wavefront6targetE1EEEvSL_.uses_vcc, 0
	.set _ZN7rocprim17ROCPRIM_400000_NS6detail17trampoline_kernelINS0_14default_configENS1_22reduce_config_selectorI7point2dEEZNS1_11reduce_implILb1ES3_N6thrust23THRUST_200600_302600_NS6detail15normal_iteratorINS9_10device_ptrIS5_EEEEP4bboxSF_14bbox_reductionEE10hipError_tPvRmT1_T2_T3_mT4_P12ihipStream_tbEUlT_E1_NS1_11comp_targetILNS1_3genE10ELNS1_11target_archE1200ELNS1_3gpuE4ELNS1_3repE0EEENS1_30default_config_static_selectorELNS0_4arch9wavefront6targetE1EEEvSL_.uses_flat_scratch, 0
	.set _ZN7rocprim17ROCPRIM_400000_NS6detail17trampoline_kernelINS0_14default_configENS1_22reduce_config_selectorI7point2dEEZNS1_11reduce_implILb1ES3_N6thrust23THRUST_200600_302600_NS6detail15normal_iteratorINS9_10device_ptrIS5_EEEEP4bboxSF_14bbox_reductionEE10hipError_tPvRmT1_T2_T3_mT4_P12ihipStream_tbEUlT_E1_NS1_11comp_targetILNS1_3genE10ELNS1_11target_archE1200ELNS1_3gpuE4ELNS1_3repE0EEENS1_30default_config_static_selectorELNS0_4arch9wavefront6targetE1EEEvSL_.has_dyn_sized_stack, 0
	.set _ZN7rocprim17ROCPRIM_400000_NS6detail17trampoline_kernelINS0_14default_configENS1_22reduce_config_selectorI7point2dEEZNS1_11reduce_implILb1ES3_N6thrust23THRUST_200600_302600_NS6detail15normal_iteratorINS9_10device_ptrIS5_EEEEP4bboxSF_14bbox_reductionEE10hipError_tPvRmT1_T2_T3_mT4_P12ihipStream_tbEUlT_E1_NS1_11comp_targetILNS1_3genE10ELNS1_11target_archE1200ELNS1_3gpuE4ELNS1_3repE0EEENS1_30default_config_static_selectorELNS0_4arch9wavefront6targetE1EEEvSL_.has_recursion, 0
	.set _ZN7rocprim17ROCPRIM_400000_NS6detail17trampoline_kernelINS0_14default_configENS1_22reduce_config_selectorI7point2dEEZNS1_11reduce_implILb1ES3_N6thrust23THRUST_200600_302600_NS6detail15normal_iteratorINS9_10device_ptrIS5_EEEEP4bboxSF_14bbox_reductionEE10hipError_tPvRmT1_T2_T3_mT4_P12ihipStream_tbEUlT_E1_NS1_11comp_targetILNS1_3genE10ELNS1_11target_archE1200ELNS1_3gpuE4ELNS1_3repE0EEENS1_30default_config_static_selectorELNS0_4arch9wavefront6targetE1EEEvSL_.has_indirect_call, 0
	.section	.AMDGPU.csdata,"",@progbits
; Kernel info:
; codeLenInByte = 0
; TotalNumSgprs: 4
; NumVgprs: 0
; ScratchSize: 0
; MemoryBound: 0
; FloatMode: 240
; IeeeMode: 1
; LDSByteSize: 0 bytes/workgroup (compile time only)
; SGPRBlocks: 0
; VGPRBlocks: 0
; NumSGPRsForWavesPerEU: 4
; NumVGPRsForWavesPerEU: 1
; Occupancy: 10
; WaveLimiterHint : 0
; COMPUTE_PGM_RSRC2:SCRATCH_EN: 0
; COMPUTE_PGM_RSRC2:USER_SGPR: 6
; COMPUTE_PGM_RSRC2:TRAP_HANDLER: 0
; COMPUTE_PGM_RSRC2:TGID_X_EN: 1
; COMPUTE_PGM_RSRC2:TGID_Y_EN: 0
; COMPUTE_PGM_RSRC2:TGID_Z_EN: 0
; COMPUTE_PGM_RSRC2:TIDIG_COMP_CNT: 0
	.section	.text._ZN7rocprim17ROCPRIM_400000_NS6detail17trampoline_kernelINS0_14default_configENS1_22reduce_config_selectorI7point2dEEZNS1_11reduce_implILb1ES3_N6thrust23THRUST_200600_302600_NS6detail15normal_iteratorINS9_10device_ptrIS5_EEEEP4bboxSF_14bbox_reductionEE10hipError_tPvRmT1_T2_T3_mT4_P12ihipStream_tbEUlT_E1_NS1_11comp_targetILNS1_3genE9ELNS1_11target_archE1100ELNS1_3gpuE3ELNS1_3repE0EEENS1_30default_config_static_selectorELNS0_4arch9wavefront6targetE1EEEvSL_,"axG",@progbits,_ZN7rocprim17ROCPRIM_400000_NS6detail17trampoline_kernelINS0_14default_configENS1_22reduce_config_selectorI7point2dEEZNS1_11reduce_implILb1ES3_N6thrust23THRUST_200600_302600_NS6detail15normal_iteratorINS9_10device_ptrIS5_EEEEP4bboxSF_14bbox_reductionEE10hipError_tPvRmT1_T2_T3_mT4_P12ihipStream_tbEUlT_E1_NS1_11comp_targetILNS1_3genE9ELNS1_11target_archE1100ELNS1_3gpuE3ELNS1_3repE0EEENS1_30default_config_static_selectorELNS0_4arch9wavefront6targetE1EEEvSL_,comdat
	.protected	_ZN7rocprim17ROCPRIM_400000_NS6detail17trampoline_kernelINS0_14default_configENS1_22reduce_config_selectorI7point2dEEZNS1_11reduce_implILb1ES3_N6thrust23THRUST_200600_302600_NS6detail15normal_iteratorINS9_10device_ptrIS5_EEEEP4bboxSF_14bbox_reductionEE10hipError_tPvRmT1_T2_T3_mT4_P12ihipStream_tbEUlT_E1_NS1_11comp_targetILNS1_3genE9ELNS1_11target_archE1100ELNS1_3gpuE3ELNS1_3repE0EEENS1_30default_config_static_selectorELNS0_4arch9wavefront6targetE1EEEvSL_ ; -- Begin function _ZN7rocprim17ROCPRIM_400000_NS6detail17trampoline_kernelINS0_14default_configENS1_22reduce_config_selectorI7point2dEEZNS1_11reduce_implILb1ES3_N6thrust23THRUST_200600_302600_NS6detail15normal_iteratorINS9_10device_ptrIS5_EEEEP4bboxSF_14bbox_reductionEE10hipError_tPvRmT1_T2_T3_mT4_P12ihipStream_tbEUlT_E1_NS1_11comp_targetILNS1_3genE9ELNS1_11target_archE1100ELNS1_3gpuE3ELNS1_3repE0EEENS1_30default_config_static_selectorELNS0_4arch9wavefront6targetE1EEEvSL_
	.globl	_ZN7rocprim17ROCPRIM_400000_NS6detail17trampoline_kernelINS0_14default_configENS1_22reduce_config_selectorI7point2dEEZNS1_11reduce_implILb1ES3_N6thrust23THRUST_200600_302600_NS6detail15normal_iteratorINS9_10device_ptrIS5_EEEEP4bboxSF_14bbox_reductionEE10hipError_tPvRmT1_T2_T3_mT4_P12ihipStream_tbEUlT_E1_NS1_11comp_targetILNS1_3genE9ELNS1_11target_archE1100ELNS1_3gpuE3ELNS1_3repE0EEENS1_30default_config_static_selectorELNS0_4arch9wavefront6targetE1EEEvSL_
	.p2align	8
	.type	_ZN7rocprim17ROCPRIM_400000_NS6detail17trampoline_kernelINS0_14default_configENS1_22reduce_config_selectorI7point2dEEZNS1_11reduce_implILb1ES3_N6thrust23THRUST_200600_302600_NS6detail15normal_iteratorINS9_10device_ptrIS5_EEEEP4bboxSF_14bbox_reductionEE10hipError_tPvRmT1_T2_T3_mT4_P12ihipStream_tbEUlT_E1_NS1_11comp_targetILNS1_3genE9ELNS1_11target_archE1100ELNS1_3gpuE3ELNS1_3repE0EEENS1_30default_config_static_selectorELNS0_4arch9wavefront6targetE1EEEvSL_,@function
_ZN7rocprim17ROCPRIM_400000_NS6detail17trampoline_kernelINS0_14default_configENS1_22reduce_config_selectorI7point2dEEZNS1_11reduce_implILb1ES3_N6thrust23THRUST_200600_302600_NS6detail15normal_iteratorINS9_10device_ptrIS5_EEEEP4bboxSF_14bbox_reductionEE10hipError_tPvRmT1_T2_T3_mT4_P12ihipStream_tbEUlT_E1_NS1_11comp_targetILNS1_3genE9ELNS1_11target_archE1100ELNS1_3gpuE3ELNS1_3repE0EEENS1_30default_config_static_selectorELNS0_4arch9wavefront6targetE1EEEvSL_: ; @_ZN7rocprim17ROCPRIM_400000_NS6detail17trampoline_kernelINS0_14default_configENS1_22reduce_config_selectorI7point2dEEZNS1_11reduce_implILb1ES3_N6thrust23THRUST_200600_302600_NS6detail15normal_iteratorINS9_10device_ptrIS5_EEEEP4bboxSF_14bbox_reductionEE10hipError_tPvRmT1_T2_T3_mT4_P12ihipStream_tbEUlT_E1_NS1_11comp_targetILNS1_3genE9ELNS1_11target_archE1100ELNS1_3gpuE3ELNS1_3repE0EEENS1_30default_config_static_selectorELNS0_4arch9wavefront6targetE1EEEvSL_
; %bb.0:
	.section	.rodata,"a",@progbits
	.p2align	6, 0x0
	.amdhsa_kernel _ZN7rocprim17ROCPRIM_400000_NS6detail17trampoline_kernelINS0_14default_configENS1_22reduce_config_selectorI7point2dEEZNS1_11reduce_implILb1ES3_N6thrust23THRUST_200600_302600_NS6detail15normal_iteratorINS9_10device_ptrIS5_EEEEP4bboxSF_14bbox_reductionEE10hipError_tPvRmT1_T2_T3_mT4_P12ihipStream_tbEUlT_E1_NS1_11comp_targetILNS1_3genE9ELNS1_11target_archE1100ELNS1_3gpuE3ELNS1_3repE0EEENS1_30default_config_static_selectorELNS0_4arch9wavefront6targetE1EEEvSL_
		.amdhsa_group_segment_fixed_size 0
		.amdhsa_private_segment_fixed_size 0
		.amdhsa_kernarg_size 56
		.amdhsa_user_sgpr_count 6
		.amdhsa_user_sgpr_private_segment_buffer 1
		.amdhsa_user_sgpr_dispatch_ptr 0
		.amdhsa_user_sgpr_queue_ptr 0
		.amdhsa_user_sgpr_kernarg_segment_ptr 1
		.amdhsa_user_sgpr_dispatch_id 0
		.amdhsa_user_sgpr_flat_scratch_init 0
		.amdhsa_user_sgpr_private_segment_size 0
		.amdhsa_uses_dynamic_stack 0
		.amdhsa_system_sgpr_private_segment_wavefront_offset 0
		.amdhsa_system_sgpr_workgroup_id_x 1
		.amdhsa_system_sgpr_workgroup_id_y 0
		.amdhsa_system_sgpr_workgroup_id_z 0
		.amdhsa_system_sgpr_workgroup_info 0
		.amdhsa_system_vgpr_workitem_id 0
		.amdhsa_next_free_vgpr 1
		.amdhsa_next_free_sgpr 0
		.amdhsa_reserve_vcc 0
		.amdhsa_reserve_flat_scratch 0
		.amdhsa_float_round_mode_32 0
		.amdhsa_float_round_mode_16_64 0
		.amdhsa_float_denorm_mode_32 3
		.amdhsa_float_denorm_mode_16_64 3
		.amdhsa_dx10_clamp 1
		.amdhsa_ieee_mode 1
		.amdhsa_fp16_overflow 0
		.amdhsa_exception_fp_ieee_invalid_op 0
		.amdhsa_exception_fp_denorm_src 0
		.amdhsa_exception_fp_ieee_div_zero 0
		.amdhsa_exception_fp_ieee_overflow 0
		.amdhsa_exception_fp_ieee_underflow 0
		.amdhsa_exception_fp_ieee_inexact 0
		.amdhsa_exception_int_div_zero 0
	.end_amdhsa_kernel
	.section	.text._ZN7rocprim17ROCPRIM_400000_NS6detail17trampoline_kernelINS0_14default_configENS1_22reduce_config_selectorI7point2dEEZNS1_11reduce_implILb1ES3_N6thrust23THRUST_200600_302600_NS6detail15normal_iteratorINS9_10device_ptrIS5_EEEEP4bboxSF_14bbox_reductionEE10hipError_tPvRmT1_T2_T3_mT4_P12ihipStream_tbEUlT_E1_NS1_11comp_targetILNS1_3genE9ELNS1_11target_archE1100ELNS1_3gpuE3ELNS1_3repE0EEENS1_30default_config_static_selectorELNS0_4arch9wavefront6targetE1EEEvSL_,"axG",@progbits,_ZN7rocprim17ROCPRIM_400000_NS6detail17trampoline_kernelINS0_14default_configENS1_22reduce_config_selectorI7point2dEEZNS1_11reduce_implILb1ES3_N6thrust23THRUST_200600_302600_NS6detail15normal_iteratorINS9_10device_ptrIS5_EEEEP4bboxSF_14bbox_reductionEE10hipError_tPvRmT1_T2_T3_mT4_P12ihipStream_tbEUlT_E1_NS1_11comp_targetILNS1_3genE9ELNS1_11target_archE1100ELNS1_3gpuE3ELNS1_3repE0EEENS1_30default_config_static_selectorELNS0_4arch9wavefront6targetE1EEEvSL_,comdat
.Lfunc_end36:
	.size	_ZN7rocprim17ROCPRIM_400000_NS6detail17trampoline_kernelINS0_14default_configENS1_22reduce_config_selectorI7point2dEEZNS1_11reduce_implILb1ES3_N6thrust23THRUST_200600_302600_NS6detail15normal_iteratorINS9_10device_ptrIS5_EEEEP4bboxSF_14bbox_reductionEE10hipError_tPvRmT1_T2_T3_mT4_P12ihipStream_tbEUlT_E1_NS1_11comp_targetILNS1_3genE9ELNS1_11target_archE1100ELNS1_3gpuE3ELNS1_3repE0EEENS1_30default_config_static_selectorELNS0_4arch9wavefront6targetE1EEEvSL_, .Lfunc_end36-_ZN7rocprim17ROCPRIM_400000_NS6detail17trampoline_kernelINS0_14default_configENS1_22reduce_config_selectorI7point2dEEZNS1_11reduce_implILb1ES3_N6thrust23THRUST_200600_302600_NS6detail15normal_iteratorINS9_10device_ptrIS5_EEEEP4bboxSF_14bbox_reductionEE10hipError_tPvRmT1_T2_T3_mT4_P12ihipStream_tbEUlT_E1_NS1_11comp_targetILNS1_3genE9ELNS1_11target_archE1100ELNS1_3gpuE3ELNS1_3repE0EEENS1_30default_config_static_selectorELNS0_4arch9wavefront6targetE1EEEvSL_
                                        ; -- End function
	.set _ZN7rocprim17ROCPRIM_400000_NS6detail17trampoline_kernelINS0_14default_configENS1_22reduce_config_selectorI7point2dEEZNS1_11reduce_implILb1ES3_N6thrust23THRUST_200600_302600_NS6detail15normal_iteratorINS9_10device_ptrIS5_EEEEP4bboxSF_14bbox_reductionEE10hipError_tPvRmT1_T2_T3_mT4_P12ihipStream_tbEUlT_E1_NS1_11comp_targetILNS1_3genE9ELNS1_11target_archE1100ELNS1_3gpuE3ELNS1_3repE0EEENS1_30default_config_static_selectorELNS0_4arch9wavefront6targetE1EEEvSL_.num_vgpr, 0
	.set _ZN7rocprim17ROCPRIM_400000_NS6detail17trampoline_kernelINS0_14default_configENS1_22reduce_config_selectorI7point2dEEZNS1_11reduce_implILb1ES3_N6thrust23THRUST_200600_302600_NS6detail15normal_iteratorINS9_10device_ptrIS5_EEEEP4bboxSF_14bbox_reductionEE10hipError_tPvRmT1_T2_T3_mT4_P12ihipStream_tbEUlT_E1_NS1_11comp_targetILNS1_3genE9ELNS1_11target_archE1100ELNS1_3gpuE3ELNS1_3repE0EEENS1_30default_config_static_selectorELNS0_4arch9wavefront6targetE1EEEvSL_.num_agpr, 0
	.set _ZN7rocprim17ROCPRIM_400000_NS6detail17trampoline_kernelINS0_14default_configENS1_22reduce_config_selectorI7point2dEEZNS1_11reduce_implILb1ES3_N6thrust23THRUST_200600_302600_NS6detail15normal_iteratorINS9_10device_ptrIS5_EEEEP4bboxSF_14bbox_reductionEE10hipError_tPvRmT1_T2_T3_mT4_P12ihipStream_tbEUlT_E1_NS1_11comp_targetILNS1_3genE9ELNS1_11target_archE1100ELNS1_3gpuE3ELNS1_3repE0EEENS1_30default_config_static_selectorELNS0_4arch9wavefront6targetE1EEEvSL_.numbered_sgpr, 0
	.set _ZN7rocprim17ROCPRIM_400000_NS6detail17trampoline_kernelINS0_14default_configENS1_22reduce_config_selectorI7point2dEEZNS1_11reduce_implILb1ES3_N6thrust23THRUST_200600_302600_NS6detail15normal_iteratorINS9_10device_ptrIS5_EEEEP4bboxSF_14bbox_reductionEE10hipError_tPvRmT1_T2_T3_mT4_P12ihipStream_tbEUlT_E1_NS1_11comp_targetILNS1_3genE9ELNS1_11target_archE1100ELNS1_3gpuE3ELNS1_3repE0EEENS1_30default_config_static_selectorELNS0_4arch9wavefront6targetE1EEEvSL_.num_named_barrier, 0
	.set _ZN7rocprim17ROCPRIM_400000_NS6detail17trampoline_kernelINS0_14default_configENS1_22reduce_config_selectorI7point2dEEZNS1_11reduce_implILb1ES3_N6thrust23THRUST_200600_302600_NS6detail15normal_iteratorINS9_10device_ptrIS5_EEEEP4bboxSF_14bbox_reductionEE10hipError_tPvRmT1_T2_T3_mT4_P12ihipStream_tbEUlT_E1_NS1_11comp_targetILNS1_3genE9ELNS1_11target_archE1100ELNS1_3gpuE3ELNS1_3repE0EEENS1_30default_config_static_selectorELNS0_4arch9wavefront6targetE1EEEvSL_.private_seg_size, 0
	.set _ZN7rocprim17ROCPRIM_400000_NS6detail17trampoline_kernelINS0_14default_configENS1_22reduce_config_selectorI7point2dEEZNS1_11reduce_implILb1ES3_N6thrust23THRUST_200600_302600_NS6detail15normal_iteratorINS9_10device_ptrIS5_EEEEP4bboxSF_14bbox_reductionEE10hipError_tPvRmT1_T2_T3_mT4_P12ihipStream_tbEUlT_E1_NS1_11comp_targetILNS1_3genE9ELNS1_11target_archE1100ELNS1_3gpuE3ELNS1_3repE0EEENS1_30default_config_static_selectorELNS0_4arch9wavefront6targetE1EEEvSL_.uses_vcc, 0
	.set _ZN7rocprim17ROCPRIM_400000_NS6detail17trampoline_kernelINS0_14default_configENS1_22reduce_config_selectorI7point2dEEZNS1_11reduce_implILb1ES3_N6thrust23THRUST_200600_302600_NS6detail15normal_iteratorINS9_10device_ptrIS5_EEEEP4bboxSF_14bbox_reductionEE10hipError_tPvRmT1_T2_T3_mT4_P12ihipStream_tbEUlT_E1_NS1_11comp_targetILNS1_3genE9ELNS1_11target_archE1100ELNS1_3gpuE3ELNS1_3repE0EEENS1_30default_config_static_selectorELNS0_4arch9wavefront6targetE1EEEvSL_.uses_flat_scratch, 0
	.set _ZN7rocprim17ROCPRIM_400000_NS6detail17trampoline_kernelINS0_14default_configENS1_22reduce_config_selectorI7point2dEEZNS1_11reduce_implILb1ES3_N6thrust23THRUST_200600_302600_NS6detail15normal_iteratorINS9_10device_ptrIS5_EEEEP4bboxSF_14bbox_reductionEE10hipError_tPvRmT1_T2_T3_mT4_P12ihipStream_tbEUlT_E1_NS1_11comp_targetILNS1_3genE9ELNS1_11target_archE1100ELNS1_3gpuE3ELNS1_3repE0EEENS1_30default_config_static_selectorELNS0_4arch9wavefront6targetE1EEEvSL_.has_dyn_sized_stack, 0
	.set _ZN7rocprim17ROCPRIM_400000_NS6detail17trampoline_kernelINS0_14default_configENS1_22reduce_config_selectorI7point2dEEZNS1_11reduce_implILb1ES3_N6thrust23THRUST_200600_302600_NS6detail15normal_iteratorINS9_10device_ptrIS5_EEEEP4bboxSF_14bbox_reductionEE10hipError_tPvRmT1_T2_T3_mT4_P12ihipStream_tbEUlT_E1_NS1_11comp_targetILNS1_3genE9ELNS1_11target_archE1100ELNS1_3gpuE3ELNS1_3repE0EEENS1_30default_config_static_selectorELNS0_4arch9wavefront6targetE1EEEvSL_.has_recursion, 0
	.set _ZN7rocprim17ROCPRIM_400000_NS6detail17trampoline_kernelINS0_14default_configENS1_22reduce_config_selectorI7point2dEEZNS1_11reduce_implILb1ES3_N6thrust23THRUST_200600_302600_NS6detail15normal_iteratorINS9_10device_ptrIS5_EEEEP4bboxSF_14bbox_reductionEE10hipError_tPvRmT1_T2_T3_mT4_P12ihipStream_tbEUlT_E1_NS1_11comp_targetILNS1_3genE9ELNS1_11target_archE1100ELNS1_3gpuE3ELNS1_3repE0EEENS1_30default_config_static_selectorELNS0_4arch9wavefront6targetE1EEEvSL_.has_indirect_call, 0
	.section	.AMDGPU.csdata,"",@progbits
; Kernel info:
; codeLenInByte = 0
; TotalNumSgprs: 4
; NumVgprs: 0
; ScratchSize: 0
; MemoryBound: 0
; FloatMode: 240
; IeeeMode: 1
; LDSByteSize: 0 bytes/workgroup (compile time only)
; SGPRBlocks: 0
; VGPRBlocks: 0
; NumSGPRsForWavesPerEU: 4
; NumVGPRsForWavesPerEU: 1
; Occupancy: 10
; WaveLimiterHint : 0
; COMPUTE_PGM_RSRC2:SCRATCH_EN: 0
; COMPUTE_PGM_RSRC2:USER_SGPR: 6
; COMPUTE_PGM_RSRC2:TRAP_HANDLER: 0
; COMPUTE_PGM_RSRC2:TGID_X_EN: 1
; COMPUTE_PGM_RSRC2:TGID_Y_EN: 0
; COMPUTE_PGM_RSRC2:TGID_Z_EN: 0
; COMPUTE_PGM_RSRC2:TIDIG_COMP_CNT: 0
	.section	.text._ZN7rocprim17ROCPRIM_400000_NS6detail17trampoline_kernelINS0_14default_configENS1_22reduce_config_selectorI7point2dEEZNS1_11reduce_implILb1ES3_N6thrust23THRUST_200600_302600_NS6detail15normal_iteratorINS9_10device_ptrIS5_EEEEP4bboxSF_14bbox_reductionEE10hipError_tPvRmT1_T2_T3_mT4_P12ihipStream_tbEUlT_E1_NS1_11comp_targetILNS1_3genE8ELNS1_11target_archE1030ELNS1_3gpuE2ELNS1_3repE0EEENS1_30default_config_static_selectorELNS0_4arch9wavefront6targetE1EEEvSL_,"axG",@progbits,_ZN7rocprim17ROCPRIM_400000_NS6detail17trampoline_kernelINS0_14default_configENS1_22reduce_config_selectorI7point2dEEZNS1_11reduce_implILb1ES3_N6thrust23THRUST_200600_302600_NS6detail15normal_iteratorINS9_10device_ptrIS5_EEEEP4bboxSF_14bbox_reductionEE10hipError_tPvRmT1_T2_T3_mT4_P12ihipStream_tbEUlT_E1_NS1_11comp_targetILNS1_3genE8ELNS1_11target_archE1030ELNS1_3gpuE2ELNS1_3repE0EEENS1_30default_config_static_selectorELNS0_4arch9wavefront6targetE1EEEvSL_,comdat
	.protected	_ZN7rocprim17ROCPRIM_400000_NS6detail17trampoline_kernelINS0_14default_configENS1_22reduce_config_selectorI7point2dEEZNS1_11reduce_implILb1ES3_N6thrust23THRUST_200600_302600_NS6detail15normal_iteratorINS9_10device_ptrIS5_EEEEP4bboxSF_14bbox_reductionEE10hipError_tPvRmT1_T2_T3_mT4_P12ihipStream_tbEUlT_E1_NS1_11comp_targetILNS1_3genE8ELNS1_11target_archE1030ELNS1_3gpuE2ELNS1_3repE0EEENS1_30default_config_static_selectorELNS0_4arch9wavefront6targetE1EEEvSL_ ; -- Begin function _ZN7rocprim17ROCPRIM_400000_NS6detail17trampoline_kernelINS0_14default_configENS1_22reduce_config_selectorI7point2dEEZNS1_11reduce_implILb1ES3_N6thrust23THRUST_200600_302600_NS6detail15normal_iteratorINS9_10device_ptrIS5_EEEEP4bboxSF_14bbox_reductionEE10hipError_tPvRmT1_T2_T3_mT4_P12ihipStream_tbEUlT_E1_NS1_11comp_targetILNS1_3genE8ELNS1_11target_archE1030ELNS1_3gpuE2ELNS1_3repE0EEENS1_30default_config_static_selectorELNS0_4arch9wavefront6targetE1EEEvSL_
	.globl	_ZN7rocprim17ROCPRIM_400000_NS6detail17trampoline_kernelINS0_14default_configENS1_22reduce_config_selectorI7point2dEEZNS1_11reduce_implILb1ES3_N6thrust23THRUST_200600_302600_NS6detail15normal_iteratorINS9_10device_ptrIS5_EEEEP4bboxSF_14bbox_reductionEE10hipError_tPvRmT1_T2_T3_mT4_P12ihipStream_tbEUlT_E1_NS1_11comp_targetILNS1_3genE8ELNS1_11target_archE1030ELNS1_3gpuE2ELNS1_3repE0EEENS1_30default_config_static_selectorELNS0_4arch9wavefront6targetE1EEEvSL_
	.p2align	8
	.type	_ZN7rocprim17ROCPRIM_400000_NS6detail17trampoline_kernelINS0_14default_configENS1_22reduce_config_selectorI7point2dEEZNS1_11reduce_implILb1ES3_N6thrust23THRUST_200600_302600_NS6detail15normal_iteratorINS9_10device_ptrIS5_EEEEP4bboxSF_14bbox_reductionEE10hipError_tPvRmT1_T2_T3_mT4_P12ihipStream_tbEUlT_E1_NS1_11comp_targetILNS1_3genE8ELNS1_11target_archE1030ELNS1_3gpuE2ELNS1_3repE0EEENS1_30default_config_static_selectorELNS0_4arch9wavefront6targetE1EEEvSL_,@function
_ZN7rocprim17ROCPRIM_400000_NS6detail17trampoline_kernelINS0_14default_configENS1_22reduce_config_selectorI7point2dEEZNS1_11reduce_implILb1ES3_N6thrust23THRUST_200600_302600_NS6detail15normal_iteratorINS9_10device_ptrIS5_EEEEP4bboxSF_14bbox_reductionEE10hipError_tPvRmT1_T2_T3_mT4_P12ihipStream_tbEUlT_E1_NS1_11comp_targetILNS1_3genE8ELNS1_11target_archE1030ELNS1_3gpuE2ELNS1_3repE0EEENS1_30default_config_static_selectorELNS0_4arch9wavefront6targetE1EEEvSL_: ; @_ZN7rocprim17ROCPRIM_400000_NS6detail17trampoline_kernelINS0_14default_configENS1_22reduce_config_selectorI7point2dEEZNS1_11reduce_implILb1ES3_N6thrust23THRUST_200600_302600_NS6detail15normal_iteratorINS9_10device_ptrIS5_EEEEP4bboxSF_14bbox_reductionEE10hipError_tPvRmT1_T2_T3_mT4_P12ihipStream_tbEUlT_E1_NS1_11comp_targetILNS1_3genE8ELNS1_11target_archE1030ELNS1_3gpuE2ELNS1_3repE0EEENS1_30default_config_static_selectorELNS0_4arch9wavefront6targetE1EEEvSL_
; %bb.0:
	.section	.rodata,"a",@progbits
	.p2align	6, 0x0
	.amdhsa_kernel _ZN7rocprim17ROCPRIM_400000_NS6detail17trampoline_kernelINS0_14default_configENS1_22reduce_config_selectorI7point2dEEZNS1_11reduce_implILb1ES3_N6thrust23THRUST_200600_302600_NS6detail15normal_iteratorINS9_10device_ptrIS5_EEEEP4bboxSF_14bbox_reductionEE10hipError_tPvRmT1_T2_T3_mT4_P12ihipStream_tbEUlT_E1_NS1_11comp_targetILNS1_3genE8ELNS1_11target_archE1030ELNS1_3gpuE2ELNS1_3repE0EEENS1_30default_config_static_selectorELNS0_4arch9wavefront6targetE1EEEvSL_
		.amdhsa_group_segment_fixed_size 0
		.amdhsa_private_segment_fixed_size 0
		.amdhsa_kernarg_size 56
		.amdhsa_user_sgpr_count 6
		.amdhsa_user_sgpr_private_segment_buffer 1
		.amdhsa_user_sgpr_dispatch_ptr 0
		.amdhsa_user_sgpr_queue_ptr 0
		.amdhsa_user_sgpr_kernarg_segment_ptr 1
		.amdhsa_user_sgpr_dispatch_id 0
		.amdhsa_user_sgpr_flat_scratch_init 0
		.amdhsa_user_sgpr_private_segment_size 0
		.amdhsa_uses_dynamic_stack 0
		.amdhsa_system_sgpr_private_segment_wavefront_offset 0
		.amdhsa_system_sgpr_workgroup_id_x 1
		.amdhsa_system_sgpr_workgroup_id_y 0
		.amdhsa_system_sgpr_workgroup_id_z 0
		.amdhsa_system_sgpr_workgroup_info 0
		.amdhsa_system_vgpr_workitem_id 0
		.amdhsa_next_free_vgpr 1
		.amdhsa_next_free_sgpr 0
		.amdhsa_reserve_vcc 0
		.amdhsa_reserve_flat_scratch 0
		.amdhsa_float_round_mode_32 0
		.amdhsa_float_round_mode_16_64 0
		.amdhsa_float_denorm_mode_32 3
		.amdhsa_float_denorm_mode_16_64 3
		.amdhsa_dx10_clamp 1
		.amdhsa_ieee_mode 1
		.amdhsa_fp16_overflow 0
		.amdhsa_exception_fp_ieee_invalid_op 0
		.amdhsa_exception_fp_denorm_src 0
		.amdhsa_exception_fp_ieee_div_zero 0
		.amdhsa_exception_fp_ieee_overflow 0
		.amdhsa_exception_fp_ieee_underflow 0
		.amdhsa_exception_fp_ieee_inexact 0
		.amdhsa_exception_int_div_zero 0
	.end_amdhsa_kernel
	.section	.text._ZN7rocprim17ROCPRIM_400000_NS6detail17trampoline_kernelINS0_14default_configENS1_22reduce_config_selectorI7point2dEEZNS1_11reduce_implILb1ES3_N6thrust23THRUST_200600_302600_NS6detail15normal_iteratorINS9_10device_ptrIS5_EEEEP4bboxSF_14bbox_reductionEE10hipError_tPvRmT1_T2_T3_mT4_P12ihipStream_tbEUlT_E1_NS1_11comp_targetILNS1_3genE8ELNS1_11target_archE1030ELNS1_3gpuE2ELNS1_3repE0EEENS1_30default_config_static_selectorELNS0_4arch9wavefront6targetE1EEEvSL_,"axG",@progbits,_ZN7rocprim17ROCPRIM_400000_NS6detail17trampoline_kernelINS0_14default_configENS1_22reduce_config_selectorI7point2dEEZNS1_11reduce_implILb1ES3_N6thrust23THRUST_200600_302600_NS6detail15normal_iteratorINS9_10device_ptrIS5_EEEEP4bboxSF_14bbox_reductionEE10hipError_tPvRmT1_T2_T3_mT4_P12ihipStream_tbEUlT_E1_NS1_11comp_targetILNS1_3genE8ELNS1_11target_archE1030ELNS1_3gpuE2ELNS1_3repE0EEENS1_30default_config_static_selectorELNS0_4arch9wavefront6targetE1EEEvSL_,comdat
.Lfunc_end37:
	.size	_ZN7rocprim17ROCPRIM_400000_NS6detail17trampoline_kernelINS0_14default_configENS1_22reduce_config_selectorI7point2dEEZNS1_11reduce_implILb1ES3_N6thrust23THRUST_200600_302600_NS6detail15normal_iteratorINS9_10device_ptrIS5_EEEEP4bboxSF_14bbox_reductionEE10hipError_tPvRmT1_T2_T3_mT4_P12ihipStream_tbEUlT_E1_NS1_11comp_targetILNS1_3genE8ELNS1_11target_archE1030ELNS1_3gpuE2ELNS1_3repE0EEENS1_30default_config_static_selectorELNS0_4arch9wavefront6targetE1EEEvSL_, .Lfunc_end37-_ZN7rocprim17ROCPRIM_400000_NS6detail17trampoline_kernelINS0_14default_configENS1_22reduce_config_selectorI7point2dEEZNS1_11reduce_implILb1ES3_N6thrust23THRUST_200600_302600_NS6detail15normal_iteratorINS9_10device_ptrIS5_EEEEP4bboxSF_14bbox_reductionEE10hipError_tPvRmT1_T2_T3_mT4_P12ihipStream_tbEUlT_E1_NS1_11comp_targetILNS1_3genE8ELNS1_11target_archE1030ELNS1_3gpuE2ELNS1_3repE0EEENS1_30default_config_static_selectorELNS0_4arch9wavefront6targetE1EEEvSL_
                                        ; -- End function
	.set _ZN7rocprim17ROCPRIM_400000_NS6detail17trampoline_kernelINS0_14default_configENS1_22reduce_config_selectorI7point2dEEZNS1_11reduce_implILb1ES3_N6thrust23THRUST_200600_302600_NS6detail15normal_iteratorINS9_10device_ptrIS5_EEEEP4bboxSF_14bbox_reductionEE10hipError_tPvRmT1_T2_T3_mT4_P12ihipStream_tbEUlT_E1_NS1_11comp_targetILNS1_3genE8ELNS1_11target_archE1030ELNS1_3gpuE2ELNS1_3repE0EEENS1_30default_config_static_selectorELNS0_4arch9wavefront6targetE1EEEvSL_.num_vgpr, 0
	.set _ZN7rocprim17ROCPRIM_400000_NS6detail17trampoline_kernelINS0_14default_configENS1_22reduce_config_selectorI7point2dEEZNS1_11reduce_implILb1ES3_N6thrust23THRUST_200600_302600_NS6detail15normal_iteratorINS9_10device_ptrIS5_EEEEP4bboxSF_14bbox_reductionEE10hipError_tPvRmT1_T2_T3_mT4_P12ihipStream_tbEUlT_E1_NS1_11comp_targetILNS1_3genE8ELNS1_11target_archE1030ELNS1_3gpuE2ELNS1_3repE0EEENS1_30default_config_static_selectorELNS0_4arch9wavefront6targetE1EEEvSL_.num_agpr, 0
	.set _ZN7rocprim17ROCPRIM_400000_NS6detail17trampoline_kernelINS0_14default_configENS1_22reduce_config_selectorI7point2dEEZNS1_11reduce_implILb1ES3_N6thrust23THRUST_200600_302600_NS6detail15normal_iteratorINS9_10device_ptrIS5_EEEEP4bboxSF_14bbox_reductionEE10hipError_tPvRmT1_T2_T3_mT4_P12ihipStream_tbEUlT_E1_NS1_11comp_targetILNS1_3genE8ELNS1_11target_archE1030ELNS1_3gpuE2ELNS1_3repE0EEENS1_30default_config_static_selectorELNS0_4arch9wavefront6targetE1EEEvSL_.numbered_sgpr, 0
	.set _ZN7rocprim17ROCPRIM_400000_NS6detail17trampoline_kernelINS0_14default_configENS1_22reduce_config_selectorI7point2dEEZNS1_11reduce_implILb1ES3_N6thrust23THRUST_200600_302600_NS6detail15normal_iteratorINS9_10device_ptrIS5_EEEEP4bboxSF_14bbox_reductionEE10hipError_tPvRmT1_T2_T3_mT4_P12ihipStream_tbEUlT_E1_NS1_11comp_targetILNS1_3genE8ELNS1_11target_archE1030ELNS1_3gpuE2ELNS1_3repE0EEENS1_30default_config_static_selectorELNS0_4arch9wavefront6targetE1EEEvSL_.num_named_barrier, 0
	.set _ZN7rocprim17ROCPRIM_400000_NS6detail17trampoline_kernelINS0_14default_configENS1_22reduce_config_selectorI7point2dEEZNS1_11reduce_implILb1ES3_N6thrust23THRUST_200600_302600_NS6detail15normal_iteratorINS9_10device_ptrIS5_EEEEP4bboxSF_14bbox_reductionEE10hipError_tPvRmT1_T2_T3_mT4_P12ihipStream_tbEUlT_E1_NS1_11comp_targetILNS1_3genE8ELNS1_11target_archE1030ELNS1_3gpuE2ELNS1_3repE0EEENS1_30default_config_static_selectorELNS0_4arch9wavefront6targetE1EEEvSL_.private_seg_size, 0
	.set _ZN7rocprim17ROCPRIM_400000_NS6detail17trampoline_kernelINS0_14default_configENS1_22reduce_config_selectorI7point2dEEZNS1_11reduce_implILb1ES3_N6thrust23THRUST_200600_302600_NS6detail15normal_iteratorINS9_10device_ptrIS5_EEEEP4bboxSF_14bbox_reductionEE10hipError_tPvRmT1_T2_T3_mT4_P12ihipStream_tbEUlT_E1_NS1_11comp_targetILNS1_3genE8ELNS1_11target_archE1030ELNS1_3gpuE2ELNS1_3repE0EEENS1_30default_config_static_selectorELNS0_4arch9wavefront6targetE1EEEvSL_.uses_vcc, 0
	.set _ZN7rocprim17ROCPRIM_400000_NS6detail17trampoline_kernelINS0_14default_configENS1_22reduce_config_selectorI7point2dEEZNS1_11reduce_implILb1ES3_N6thrust23THRUST_200600_302600_NS6detail15normal_iteratorINS9_10device_ptrIS5_EEEEP4bboxSF_14bbox_reductionEE10hipError_tPvRmT1_T2_T3_mT4_P12ihipStream_tbEUlT_E1_NS1_11comp_targetILNS1_3genE8ELNS1_11target_archE1030ELNS1_3gpuE2ELNS1_3repE0EEENS1_30default_config_static_selectorELNS0_4arch9wavefront6targetE1EEEvSL_.uses_flat_scratch, 0
	.set _ZN7rocprim17ROCPRIM_400000_NS6detail17trampoline_kernelINS0_14default_configENS1_22reduce_config_selectorI7point2dEEZNS1_11reduce_implILb1ES3_N6thrust23THRUST_200600_302600_NS6detail15normal_iteratorINS9_10device_ptrIS5_EEEEP4bboxSF_14bbox_reductionEE10hipError_tPvRmT1_T2_T3_mT4_P12ihipStream_tbEUlT_E1_NS1_11comp_targetILNS1_3genE8ELNS1_11target_archE1030ELNS1_3gpuE2ELNS1_3repE0EEENS1_30default_config_static_selectorELNS0_4arch9wavefront6targetE1EEEvSL_.has_dyn_sized_stack, 0
	.set _ZN7rocprim17ROCPRIM_400000_NS6detail17trampoline_kernelINS0_14default_configENS1_22reduce_config_selectorI7point2dEEZNS1_11reduce_implILb1ES3_N6thrust23THRUST_200600_302600_NS6detail15normal_iteratorINS9_10device_ptrIS5_EEEEP4bboxSF_14bbox_reductionEE10hipError_tPvRmT1_T2_T3_mT4_P12ihipStream_tbEUlT_E1_NS1_11comp_targetILNS1_3genE8ELNS1_11target_archE1030ELNS1_3gpuE2ELNS1_3repE0EEENS1_30default_config_static_selectorELNS0_4arch9wavefront6targetE1EEEvSL_.has_recursion, 0
	.set _ZN7rocprim17ROCPRIM_400000_NS6detail17trampoline_kernelINS0_14default_configENS1_22reduce_config_selectorI7point2dEEZNS1_11reduce_implILb1ES3_N6thrust23THRUST_200600_302600_NS6detail15normal_iteratorINS9_10device_ptrIS5_EEEEP4bboxSF_14bbox_reductionEE10hipError_tPvRmT1_T2_T3_mT4_P12ihipStream_tbEUlT_E1_NS1_11comp_targetILNS1_3genE8ELNS1_11target_archE1030ELNS1_3gpuE2ELNS1_3repE0EEENS1_30default_config_static_selectorELNS0_4arch9wavefront6targetE1EEEvSL_.has_indirect_call, 0
	.section	.AMDGPU.csdata,"",@progbits
; Kernel info:
; codeLenInByte = 0
; TotalNumSgprs: 4
; NumVgprs: 0
; ScratchSize: 0
; MemoryBound: 0
; FloatMode: 240
; IeeeMode: 1
; LDSByteSize: 0 bytes/workgroup (compile time only)
; SGPRBlocks: 0
; VGPRBlocks: 0
; NumSGPRsForWavesPerEU: 4
; NumVGPRsForWavesPerEU: 1
; Occupancy: 10
; WaveLimiterHint : 0
; COMPUTE_PGM_RSRC2:SCRATCH_EN: 0
; COMPUTE_PGM_RSRC2:USER_SGPR: 6
; COMPUTE_PGM_RSRC2:TRAP_HANDLER: 0
; COMPUTE_PGM_RSRC2:TGID_X_EN: 1
; COMPUTE_PGM_RSRC2:TGID_Y_EN: 0
; COMPUTE_PGM_RSRC2:TGID_Z_EN: 0
; COMPUTE_PGM_RSRC2:TIDIG_COMP_CNT: 0
	.section	.AMDGPU.gpr_maximums,"",@progbits
	.set amdgpu.max_num_vgpr, 0
	.set amdgpu.max_num_agpr, 0
	.set amdgpu.max_num_sgpr, 0
	.section	.AMDGPU.csdata,"",@progbits
	.type	__hip_cuid_ccab1f42c8f4ec57,@object ; @__hip_cuid_ccab1f42c8f4ec57
	.section	.bss,"aw",@nobits
	.globl	__hip_cuid_ccab1f42c8f4ec57
__hip_cuid_ccab1f42c8f4ec57:
	.byte	0                               ; 0x0
	.size	__hip_cuid_ccab1f42c8f4ec57, 1

	.ident	"AMD clang version 22.0.0git (https://github.com/RadeonOpenCompute/llvm-project roc-7.2.4 26084 f58b06dce1f9c15707c5f808fd002e18c2accf7e)"
	.section	".note.GNU-stack","",@progbits
	.addrsig
	.addrsig_sym __hip_cuid_ccab1f42c8f4ec57
	.amdgpu_metadata
---
amdhsa.kernels:
  - .args:
      - .offset:         0
        .size:           16
        .value_kind:     by_value
      - .offset:         16
        .size:           8
        .value_kind:     by_value
      - .offset:         24
        .size:           8
        .value_kind:     by_value
    .group_segment_fixed_size: 0
    .kernarg_segment_align: 8
    .kernarg_segment_size: 32
    .language:       OpenCL C
    .language_version:
      - 2
      - 0
    .max_flat_workgroup_size: 256
    .name:           _ZN6thrust23THRUST_200600_302600_NS11hip_rocprim14__parallel_for6kernelILj256ENS1_10for_each_fINS0_10device_ptrI7point2dEENS0_6detail16wrapped_functionINS8_23allocator_traits_detail24construct1_via_allocatorINS0_16device_allocatorIS6_EEEEvEEEEmLj1EEEvT0_T1_SI_
    .private_segment_fixed_size: 0
    .sgpr_count:     16
    .sgpr_spill_count: 0
    .symbol:         _ZN6thrust23THRUST_200600_302600_NS11hip_rocprim14__parallel_for6kernelILj256ENS1_10for_each_fINS0_10device_ptrI7point2dEENS0_6detail16wrapped_functionINS8_23allocator_traits_detail24construct1_via_allocatorINS0_16device_allocatorIS6_EEEEvEEEEmLj1EEEvT0_T1_SI_.kd
    .uniform_work_group_size: 1
    .uses_dynamic_stack: false
    .vgpr_count:     5
    .vgpr_spill_count: 0
    .wavefront_size: 64
  - .args:
      - .offset:         0
        .size:           16
        .value_kind:     by_value
      - .offset:         16
        .size:           8
        .value_kind:     by_value
      - .offset:         24
        .size:           8
        .value_kind:     by_value
    .group_segment_fixed_size: 0
    .kernarg_segment_align: 8
    .kernarg_segment_size: 32
    .language:       OpenCL C
    .language_version:
      - 2
      - 0
    .max_flat_workgroup_size: 256
    .name:           _ZN6thrust23THRUST_200600_302600_NS11hip_rocprim14__parallel_for6kernelILj256ENS1_10for_each_fINS0_10device_ptrI7point2dEENS0_6detail16wrapped_functionINS8_23allocator_traits_detail5gozerEvEEEElLj1EEEvT0_T1_SF_
    .private_segment_fixed_size: 0
    .sgpr_count:     4
    .sgpr_spill_count: 0
    .symbol:         _ZN6thrust23THRUST_200600_302600_NS11hip_rocprim14__parallel_for6kernelILj256ENS1_10for_each_fINS0_10device_ptrI7point2dEENS0_6detail16wrapped_functionINS8_23allocator_traits_detail5gozerEvEEEElLj1EEEvT0_T1_SF_.kd
    .uniform_work_group_size: 1
    .uses_dynamic_stack: false
    .vgpr_count:     0
    .vgpr_spill_count: 0
    .wavefront_size: 64
  - .args:
      - .offset:         0
        .size:           72
        .value_kind:     by_value
    .group_segment_fixed_size: 0
    .kernarg_segment_align: 8
    .kernarg_segment_size: 72
    .language:       OpenCL C
    .language_version:
      - 2
      - 0
    .max_flat_workgroup_size: 128
    .name:           _ZN7rocprim17ROCPRIM_400000_NS6detail17trampoline_kernelINS0_14default_configENS1_22reduce_config_selectorI4bboxEEZNS1_11reduce_implILb1ES3_PS5_S8_S5_14bbox_reductionEE10hipError_tPvRmT1_T2_T3_mT4_P12ihipStream_tbEUlT_E0_NS1_11comp_targetILNS1_3genE0ELNS1_11target_archE4294967295ELNS1_3gpuE0ELNS1_3repE0EEENS1_30default_config_static_selectorELNS0_4arch9wavefront6targetE1EEEvSD_
    .private_segment_fixed_size: 0
    .sgpr_count:     4
    .sgpr_spill_count: 0
    .symbol:         _ZN7rocprim17ROCPRIM_400000_NS6detail17trampoline_kernelINS0_14default_configENS1_22reduce_config_selectorI4bboxEEZNS1_11reduce_implILb1ES3_PS5_S8_S5_14bbox_reductionEE10hipError_tPvRmT1_T2_T3_mT4_P12ihipStream_tbEUlT_E0_NS1_11comp_targetILNS1_3genE0ELNS1_11target_archE4294967295ELNS1_3gpuE0ELNS1_3repE0EEENS1_30default_config_static_selectorELNS0_4arch9wavefront6targetE1EEEvSD_.kd
    .uniform_work_group_size: 1
    .uses_dynamic_stack: false
    .vgpr_count:     0
    .vgpr_spill_count: 0
    .wavefront_size: 64
  - .args:
      - .offset:         0
        .size:           72
        .value_kind:     by_value
    .group_segment_fixed_size: 0
    .kernarg_segment_align: 8
    .kernarg_segment_size: 72
    .language:       OpenCL C
    .language_version:
      - 2
      - 0
    .max_flat_workgroup_size: 256
    .name:           _ZN7rocprim17ROCPRIM_400000_NS6detail17trampoline_kernelINS0_14default_configENS1_22reduce_config_selectorI4bboxEEZNS1_11reduce_implILb1ES3_PS5_S8_S5_14bbox_reductionEE10hipError_tPvRmT1_T2_T3_mT4_P12ihipStream_tbEUlT_E0_NS1_11comp_targetILNS1_3genE5ELNS1_11target_archE942ELNS1_3gpuE9ELNS1_3repE0EEENS1_30default_config_static_selectorELNS0_4arch9wavefront6targetE1EEEvSD_
    .private_segment_fixed_size: 0
    .sgpr_count:     4
    .sgpr_spill_count: 0
    .symbol:         _ZN7rocprim17ROCPRIM_400000_NS6detail17trampoline_kernelINS0_14default_configENS1_22reduce_config_selectorI4bboxEEZNS1_11reduce_implILb1ES3_PS5_S8_S5_14bbox_reductionEE10hipError_tPvRmT1_T2_T3_mT4_P12ihipStream_tbEUlT_E0_NS1_11comp_targetILNS1_3genE5ELNS1_11target_archE942ELNS1_3gpuE9ELNS1_3repE0EEENS1_30default_config_static_selectorELNS0_4arch9wavefront6targetE1EEEvSD_.kd
    .uniform_work_group_size: 1
    .uses_dynamic_stack: false
    .vgpr_count:     0
    .vgpr_spill_count: 0
    .wavefront_size: 64
  - .args:
      - .offset:         0
        .size:           72
        .value_kind:     by_value
    .group_segment_fixed_size: 0
    .kernarg_segment_align: 8
    .kernarg_segment_size: 72
    .language:       OpenCL C
    .language_version:
      - 2
      - 0
    .max_flat_workgroup_size: 256
    .name:           _ZN7rocprim17ROCPRIM_400000_NS6detail17trampoline_kernelINS0_14default_configENS1_22reduce_config_selectorI4bboxEEZNS1_11reduce_implILb1ES3_PS5_S8_S5_14bbox_reductionEE10hipError_tPvRmT1_T2_T3_mT4_P12ihipStream_tbEUlT_E0_NS1_11comp_targetILNS1_3genE4ELNS1_11target_archE910ELNS1_3gpuE8ELNS1_3repE0EEENS1_30default_config_static_selectorELNS0_4arch9wavefront6targetE1EEEvSD_
    .private_segment_fixed_size: 0
    .sgpr_count:     4
    .sgpr_spill_count: 0
    .symbol:         _ZN7rocprim17ROCPRIM_400000_NS6detail17trampoline_kernelINS0_14default_configENS1_22reduce_config_selectorI4bboxEEZNS1_11reduce_implILb1ES3_PS5_S8_S5_14bbox_reductionEE10hipError_tPvRmT1_T2_T3_mT4_P12ihipStream_tbEUlT_E0_NS1_11comp_targetILNS1_3genE4ELNS1_11target_archE910ELNS1_3gpuE8ELNS1_3repE0EEENS1_30default_config_static_selectorELNS0_4arch9wavefront6targetE1EEEvSD_.kd
    .uniform_work_group_size: 1
    .uses_dynamic_stack: false
    .vgpr_count:     0
    .vgpr_spill_count: 0
    .wavefront_size: 64
  - .args:
      - .offset:         0
        .size:           72
        .value_kind:     by_value
    .group_segment_fixed_size: 0
    .kernarg_segment_align: 8
    .kernarg_segment_size: 72
    .language:       OpenCL C
    .language_version:
      - 2
      - 0
    .max_flat_workgroup_size: 128
    .name:           _ZN7rocprim17ROCPRIM_400000_NS6detail17trampoline_kernelINS0_14default_configENS1_22reduce_config_selectorI4bboxEEZNS1_11reduce_implILb1ES3_PS5_S8_S5_14bbox_reductionEE10hipError_tPvRmT1_T2_T3_mT4_P12ihipStream_tbEUlT_E0_NS1_11comp_targetILNS1_3genE3ELNS1_11target_archE908ELNS1_3gpuE7ELNS1_3repE0EEENS1_30default_config_static_selectorELNS0_4arch9wavefront6targetE1EEEvSD_
    .private_segment_fixed_size: 0
    .sgpr_count:     4
    .sgpr_spill_count: 0
    .symbol:         _ZN7rocprim17ROCPRIM_400000_NS6detail17trampoline_kernelINS0_14default_configENS1_22reduce_config_selectorI4bboxEEZNS1_11reduce_implILb1ES3_PS5_S8_S5_14bbox_reductionEE10hipError_tPvRmT1_T2_T3_mT4_P12ihipStream_tbEUlT_E0_NS1_11comp_targetILNS1_3genE3ELNS1_11target_archE908ELNS1_3gpuE7ELNS1_3repE0EEENS1_30default_config_static_selectorELNS0_4arch9wavefront6targetE1EEEvSD_.kd
    .uniform_work_group_size: 1
    .uses_dynamic_stack: false
    .vgpr_count:     0
    .vgpr_spill_count: 0
    .wavefront_size: 64
  - .args:
      - .offset:         0
        .size:           72
        .value_kind:     by_value
    .group_segment_fixed_size: 64
    .kernarg_segment_align: 8
    .kernarg_segment_size: 72
    .language:       OpenCL C
    .language_version:
      - 2
      - 0
    .max_flat_workgroup_size: 128
    .name:           _ZN7rocprim17ROCPRIM_400000_NS6detail17trampoline_kernelINS0_14default_configENS1_22reduce_config_selectorI4bboxEEZNS1_11reduce_implILb1ES3_PS5_S8_S5_14bbox_reductionEE10hipError_tPvRmT1_T2_T3_mT4_P12ihipStream_tbEUlT_E0_NS1_11comp_targetILNS1_3genE2ELNS1_11target_archE906ELNS1_3gpuE6ELNS1_3repE0EEENS1_30default_config_static_selectorELNS0_4arch9wavefront6targetE1EEEvSD_
    .private_segment_fixed_size: 0
    .sgpr_count:     24
    .sgpr_spill_count: 0
    .symbol:         _ZN7rocprim17ROCPRIM_400000_NS6detail17trampoline_kernelINS0_14default_configENS1_22reduce_config_selectorI4bboxEEZNS1_11reduce_implILb1ES3_PS5_S8_S5_14bbox_reductionEE10hipError_tPvRmT1_T2_T3_mT4_P12ihipStream_tbEUlT_E0_NS1_11comp_targetILNS1_3genE2ELNS1_11target_archE906ELNS1_3gpuE6ELNS1_3repE0EEENS1_30default_config_static_selectorELNS0_4arch9wavefront6targetE1EEEvSD_.kd
    .uniform_work_group_size: 1
    .uses_dynamic_stack: false
    .vgpr_count:     14
    .vgpr_spill_count: 0
    .wavefront_size: 64
  - .args:
      - .offset:         0
        .size:           72
        .value_kind:     by_value
    .group_segment_fixed_size: 0
    .kernarg_segment_align: 8
    .kernarg_segment_size: 72
    .language:       OpenCL C
    .language_version:
      - 2
      - 0
    .max_flat_workgroup_size: 256
    .name:           _ZN7rocprim17ROCPRIM_400000_NS6detail17trampoline_kernelINS0_14default_configENS1_22reduce_config_selectorI4bboxEEZNS1_11reduce_implILb1ES3_PS5_S8_S5_14bbox_reductionEE10hipError_tPvRmT1_T2_T3_mT4_P12ihipStream_tbEUlT_E0_NS1_11comp_targetILNS1_3genE10ELNS1_11target_archE1201ELNS1_3gpuE5ELNS1_3repE0EEENS1_30default_config_static_selectorELNS0_4arch9wavefront6targetE1EEEvSD_
    .private_segment_fixed_size: 0
    .sgpr_count:     4
    .sgpr_spill_count: 0
    .symbol:         _ZN7rocprim17ROCPRIM_400000_NS6detail17trampoline_kernelINS0_14default_configENS1_22reduce_config_selectorI4bboxEEZNS1_11reduce_implILb1ES3_PS5_S8_S5_14bbox_reductionEE10hipError_tPvRmT1_T2_T3_mT4_P12ihipStream_tbEUlT_E0_NS1_11comp_targetILNS1_3genE10ELNS1_11target_archE1201ELNS1_3gpuE5ELNS1_3repE0EEENS1_30default_config_static_selectorELNS0_4arch9wavefront6targetE1EEEvSD_.kd
    .uniform_work_group_size: 1
    .uses_dynamic_stack: false
    .vgpr_count:     0
    .vgpr_spill_count: 0
    .wavefront_size: 64
  - .args:
      - .offset:         0
        .size:           72
        .value_kind:     by_value
    .group_segment_fixed_size: 0
    .kernarg_segment_align: 8
    .kernarg_segment_size: 72
    .language:       OpenCL C
    .language_version:
      - 2
      - 0
    .max_flat_workgroup_size: 256
    .name:           _ZN7rocprim17ROCPRIM_400000_NS6detail17trampoline_kernelINS0_14default_configENS1_22reduce_config_selectorI4bboxEEZNS1_11reduce_implILb1ES3_PS5_S8_S5_14bbox_reductionEE10hipError_tPvRmT1_T2_T3_mT4_P12ihipStream_tbEUlT_E0_NS1_11comp_targetILNS1_3genE10ELNS1_11target_archE1200ELNS1_3gpuE4ELNS1_3repE0EEENS1_30default_config_static_selectorELNS0_4arch9wavefront6targetE1EEEvSD_
    .private_segment_fixed_size: 0
    .sgpr_count:     4
    .sgpr_spill_count: 0
    .symbol:         _ZN7rocprim17ROCPRIM_400000_NS6detail17trampoline_kernelINS0_14default_configENS1_22reduce_config_selectorI4bboxEEZNS1_11reduce_implILb1ES3_PS5_S8_S5_14bbox_reductionEE10hipError_tPvRmT1_T2_T3_mT4_P12ihipStream_tbEUlT_E0_NS1_11comp_targetILNS1_3genE10ELNS1_11target_archE1200ELNS1_3gpuE4ELNS1_3repE0EEENS1_30default_config_static_selectorELNS0_4arch9wavefront6targetE1EEEvSD_.kd
    .uniform_work_group_size: 1
    .uses_dynamic_stack: false
    .vgpr_count:     0
    .vgpr_spill_count: 0
    .wavefront_size: 64
  - .args:
      - .offset:         0
        .size:           72
        .value_kind:     by_value
    .group_segment_fixed_size: 0
    .kernarg_segment_align: 8
    .kernarg_segment_size: 72
    .language:       OpenCL C
    .language_version:
      - 2
      - 0
    .max_flat_workgroup_size: 256
    .name:           _ZN7rocprim17ROCPRIM_400000_NS6detail17trampoline_kernelINS0_14default_configENS1_22reduce_config_selectorI4bboxEEZNS1_11reduce_implILb1ES3_PS5_S8_S5_14bbox_reductionEE10hipError_tPvRmT1_T2_T3_mT4_P12ihipStream_tbEUlT_E0_NS1_11comp_targetILNS1_3genE9ELNS1_11target_archE1100ELNS1_3gpuE3ELNS1_3repE0EEENS1_30default_config_static_selectorELNS0_4arch9wavefront6targetE1EEEvSD_
    .private_segment_fixed_size: 0
    .sgpr_count:     4
    .sgpr_spill_count: 0
    .symbol:         _ZN7rocprim17ROCPRIM_400000_NS6detail17trampoline_kernelINS0_14default_configENS1_22reduce_config_selectorI4bboxEEZNS1_11reduce_implILb1ES3_PS5_S8_S5_14bbox_reductionEE10hipError_tPvRmT1_T2_T3_mT4_P12ihipStream_tbEUlT_E0_NS1_11comp_targetILNS1_3genE9ELNS1_11target_archE1100ELNS1_3gpuE3ELNS1_3repE0EEENS1_30default_config_static_selectorELNS0_4arch9wavefront6targetE1EEEvSD_.kd
    .uniform_work_group_size: 1
    .uses_dynamic_stack: false
    .vgpr_count:     0
    .vgpr_spill_count: 0
    .wavefront_size: 64
  - .args:
      - .offset:         0
        .size:           72
        .value_kind:     by_value
    .group_segment_fixed_size: 0
    .kernarg_segment_align: 8
    .kernarg_segment_size: 72
    .language:       OpenCL C
    .language_version:
      - 2
      - 0
    .max_flat_workgroup_size: 256
    .name:           _ZN7rocprim17ROCPRIM_400000_NS6detail17trampoline_kernelINS0_14default_configENS1_22reduce_config_selectorI4bboxEEZNS1_11reduce_implILb1ES3_PS5_S8_S5_14bbox_reductionEE10hipError_tPvRmT1_T2_T3_mT4_P12ihipStream_tbEUlT_E0_NS1_11comp_targetILNS1_3genE8ELNS1_11target_archE1030ELNS1_3gpuE2ELNS1_3repE0EEENS1_30default_config_static_selectorELNS0_4arch9wavefront6targetE1EEEvSD_
    .private_segment_fixed_size: 0
    .sgpr_count:     4
    .sgpr_spill_count: 0
    .symbol:         _ZN7rocprim17ROCPRIM_400000_NS6detail17trampoline_kernelINS0_14default_configENS1_22reduce_config_selectorI4bboxEEZNS1_11reduce_implILb1ES3_PS5_S8_S5_14bbox_reductionEE10hipError_tPvRmT1_T2_T3_mT4_P12ihipStream_tbEUlT_E0_NS1_11comp_targetILNS1_3genE8ELNS1_11target_archE1030ELNS1_3gpuE2ELNS1_3repE0EEENS1_30default_config_static_selectorELNS0_4arch9wavefront6targetE1EEEvSD_.kd
    .uniform_work_group_size: 1
    .uses_dynamic_stack: false
    .vgpr_count:     0
    .vgpr_spill_count: 0
    .wavefront_size: 64
  - .args:
      - .offset:         0
        .size:           56
        .value_kind:     by_value
    .group_segment_fixed_size: 0
    .kernarg_segment_align: 8
    .kernarg_segment_size: 56
    .language:       OpenCL C
    .language_version:
      - 2
      - 0
    .max_flat_workgroup_size: 128
    .name:           _ZN7rocprim17ROCPRIM_400000_NS6detail17trampoline_kernelINS0_14default_configENS1_22reduce_config_selectorI4bboxEEZNS1_11reduce_implILb1ES3_PS5_S8_S5_14bbox_reductionEE10hipError_tPvRmT1_T2_T3_mT4_P12ihipStream_tbEUlT_E1_NS1_11comp_targetILNS1_3genE0ELNS1_11target_archE4294967295ELNS1_3gpuE0ELNS1_3repE0EEENS1_30default_config_static_selectorELNS0_4arch9wavefront6targetE1EEEvSD_
    .private_segment_fixed_size: 0
    .sgpr_count:     4
    .sgpr_spill_count: 0
    .symbol:         _ZN7rocprim17ROCPRIM_400000_NS6detail17trampoline_kernelINS0_14default_configENS1_22reduce_config_selectorI4bboxEEZNS1_11reduce_implILb1ES3_PS5_S8_S5_14bbox_reductionEE10hipError_tPvRmT1_T2_T3_mT4_P12ihipStream_tbEUlT_E1_NS1_11comp_targetILNS1_3genE0ELNS1_11target_archE4294967295ELNS1_3gpuE0ELNS1_3repE0EEENS1_30default_config_static_selectorELNS0_4arch9wavefront6targetE1EEEvSD_.kd
    .uniform_work_group_size: 1
    .uses_dynamic_stack: false
    .vgpr_count:     0
    .vgpr_spill_count: 0
    .wavefront_size: 64
  - .args:
      - .offset:         0
        .size:           56
        .value_kind:     by_value
    .group_segment_fixed_size: 0
    .kernarg_segment_align: 8
    .kernarg_segment_size: 56
    .language:       OpenCL C
    .language_version:
      - 2
      - 0
    .max_flat_workgroup_size: 256
    .name:           _ZN7rocprim17ROCPRIM_400000_NS6detail17trampoline_kernelINS0_14default_configENS1_22reduce_config_selectorI4bboxEEZNS1_11reduce_implILb1ES3_PS5_S8_S5_14bbox_reductionEE10hipError_tPvRmT1_T2_T3_mT4_P12ihipStream_tbEUlT_E1_NS1_11comp_targetILNS1_3genE5ELNS1_11target_archE942ELNS1_3gpuE9ELNS1_3repE0EEENS1_30default_config_static_selectorELNS0_4arch9wavefront6targetE1EEEvSD_
    .private_segment_fixed_size: 0
    .sgpr_count:     4
    .sgpr_spill_count: 0
    .symbol:         _ZN7rocprim17ROCPRIM_400000_NS6detail17trampoline_kernelINS0_14default_configENS1_22reduce_config_selectorI4bboxEEZNS1_11reduce_implILb1ES3_PS5_S8_S5_14bbox_reductionEE10hipError_tPvRmT1_T2_T3_mT4_P12ihipStream_tbEUlT_E1_NS1_11comp_targetILNS1_3genE5ELNS1_11target_archE942ELNS1_3gpuE9ELNS1_3repE0EEENS1_30default_config_static_selectorELNS0_4arch9wavefront6targetE1EEEvSD_.kd
    .uniform_work_group_size: 1
    .uses_dynamic_stack: false
    .vgpr_count:     0
    .vgpr_spill_count: 0
    .wavefront_size: 64
  - .args:
      - .offset:         0
        .size:           56
        .value_kind:     by_value
    .group_segment_fixed_size: 0
    .kernarg_segment_align: 8
    .kernarg_segment_size: 56
    .language:       OpenCL C
    .language_version:
      - 2
      - 0
    .max_flat_workgroup_size: 256
    .name:           _ZN7rocprim17ROCPRIM_400000_NS6detail17trampoline_kernelINS0_14default_configENS1_22reduce_config_selectorI4bboxEEZNS1_11reduce_implILb1ES3_PS5_S8_S5_14bbox_reductionEE10hipError_tPvRmT1_T2_T3_mT4_P12ihipStream_tbEUlT_E1_NS1_11comp_targetILNS1_3genE4ELNS1_11target_archE910ELNS1_3gpuE8ELNS1_3repE0EEENS1_30default_config_static_selectorELNS0_4arch9wavefront6targetE1EEEvSD_
    .private_segment_fixed_size: 0
    .sgpr_count:     4
    .sgpr_spill_count: 0
    .symbol:         _ZN7rocprim17ROCPRIM_400000_NS6detail17trampoline_kernelINS0_14default_configENS1_22reduce_config_selectorI4bboxEEZNS1_11reduce_implILb1ES3_PS5_S8_S5_14bbox_reductionEE10hipError_tPvRmT1_T2_T3_mT4_P12ihipStream_tbEUlT_E1_NS1_11comp_targetILNS1_3genE4ELNS1_11target_archE910ELNS1_3gpuE8ELNS1_3repE0EEENS1_30default_config_static_selectorELNS0_4arch9wavefront6targetE1EEEvSD_.kd
    .uniform_work_group_size: 1
    .uses_dynamic_stack: false
    .vgpr_count:     0
    .vgpr_spill_count: 0
    .wavefront_size: 64
  - .args:
      - .offset:         0
        .size:           56
        .value_kind:     by_value
    .group_segment_fixed_size: 0
    .kernarg_segment_align: 8
    .kernarg_segment_size: 56
    .language:       OpenCL C
    .language_version:
      - 2
      - 0
    .max_flat_workgroup_size: 128
    .name:           _ZN7rocprim17ROCPRIM_400000_NS6detail17trampoline_kernelINS0_14default_configENS1_22reduce_config_selectorI4bboxEEZNS1_11reduce_implILb1ES3_PS5_S8_S5_14bbox_reductionEE10hipError_tPvRmT1_T2_T3_mT4_P12ihipStream_tbEUlT_E1_NS1_11comp_targetILNS1_3genE3ELNS1_11target_archE908ELNS1_3gpuE7ELNS1_3repE0EEENS1_30default_config_static_selectorELNS0_4arch9wavefront6targetE1EEEvSD_
    .private_segment_fixed_size: 0
    .sgpr_count:     4
    .sgpr_spill_count: 0
    .symbol:         _ZN7rocprim17ROCPRIM_400000_NS6detail17trampoline_kernelINS0_14default_configENS1_22reduce_config_selectorI4bboxEEZNS1_11reduce_implILb1ES3_PS5_S8_S5_14bbox_reductionEE10hipError_tPvRmT1_T2_T3_mT4_P12ihipStream_tbEUlT_E1_NS1_11comp_targetILNS1_3genE3ELNS1_11target_archE908ELNS1_3gpuE7ELNS1_3repE0EEENS1_30default_config_static_selectorELNS0_4arch9wavefront6targetE1EEEvSD_.kd
    .uniform_work_group_size: 1
    .uses_dynamic_stack: false
    .vgpr_count:     0
    .vgpr_spill_count: 0
    .wavefront_size: 64
  - .args:
      - .offset:         0
        .size:           56
        .value_kind:     by_value
    .group_segment_fixed_size: 160
    .kernarg_segment_align: 8
    .kernarg_segment_size: 56
    .language:       OpenCL C
    .language_version:
      - 2
      - 0
    .max_flat_workgroup_size: 128
    .name:           _ZN7rocprim17ROCPRIM_400000_NS6detail17trampoline_kernelINS0_14default_configENS1_22reduce_config_selectorI4bboxEEZNS1_11reduce_implILb1ES3_PS5_S8_S5_14bbox_reductionEE10hipError_tPvRmT1_T2_T3_mT4_P12ihipStream_tbEUlT_E1_NS1_11comp_targetILNS1_3genE2ELNS1_11target_archE906ELNS1_3gpuE6ELNS1_3repE0EEENS1_30default_config_static_selectorELNS0_4arch9wavefront6targetE1EEEvSD_
    .private_segment_fixed_size: 0
    .sgpr_count:     36
    .sgpr_spill_count: 0
    .symbol:         _ZN7rocprim17ROCPRIM_400000_NS6detail17trampoline_kernelINS0_14default_configENS1_22reduce_config_selectorI4bboxEEZNS1_11reduce_implILb1ES3_PS5_S8_S5_14bbox_reductionEE10hipError_tPvRmT1_T2_T3_mT4_P12ihipStream_tbEUlT_E1_NS1_11comp_targetILNS1_3genE2ELNS1_11target_archE906ELNS1_3gpuE6ELNS1_3repE0EEENS1_30default_config_static_selectorELNS0_4arch9wavefront6targetE1EEEvSD_.kd
    .uniform_work_group_size: 1
    .uses_dynamic_stack: false
    .vgpr_count:     34
    .vgpr_spill_count: 0
    .wavefront_size: 64
  - .args:
      - .offset:         0
        .size:           56
        .value_kind:     by_value
    .group_segment_fixed_size: 0
    .kernarg_segment_align: 8
    .kernarg_segment_size: 56
    .language:       OpenCL C
    .language_version:
      - 2
      - 0
    .max_flat_workgroup_size: 256
    .name:           _ZN7rocprim17ROCPRIM_400000_NS6detail17trampoline_kernelINS0_14default_configENS1_22reduce_config_selectorI4bboxEEZNS1_11reduce_implILb1ES3_PS5_S8_S5_14bbox_reductionEE10hipError_tPvRmT1_T2_T3_mT4_P12ihipStream_tbEUlT_E1_NS1_11comp_targetILNS1_3genE10ELNS1_11target_archE1201ELNS1_3gpuE5ELNS1_3repE0EEENS1_30default_config_static_selectorELNS0_4arch9wavefront6targetE1EEEvSD_
    .private_segment_fixed_size: 0
    .sgpr_count:     4
    .sgpr_spill_count: 0
    .symbol:         _ZN7rocprim17ROCPRIM_400000_NS6detail17trampoline_kernelINS0_14default_configENS1_22reduce_config_selectorI4bboxEEZNS1_11reduce_implILb1ES3_PS5_S8_S5_14bbox_reductionEE10hipError_tPvRmT1_T2_T3_mT4_P12ihipStream_tbEUlT_E1_NS1_11comp_targetILNS1_3genE10ELNS1_11target_archE1201ELNS1_3gpuE5ELNS1_3repE0EEENS1_30default_config_static_selectorELNS0_4arch9wavefront6targetE1EEEvSD_.kd
    .uniform_work_group_size: 1
    .uses_dynamic_stack: false
    .vgpr_count:     0
    .vgpr_spill_count: 0
    .wavefront_size: 64
  - .args:
      - .offset:         0
        .size:           56
        .value_kind:     by_value
    .group_segment_fixed_size: 0
    .kernarg_segment_align: 8
    .kernarg_segment_size: 56
    .language:       OpenCL C
    .language_version:
      - 2
      - 0
    .max_flat_workgroup_size: 256
    .name:           _ZN7rocprim17ROCPRIM_400000_NS6detail17trampoline_kernelINS0_14default_configENS1_22reduce_config_selectorI4bboxEEZNS1_11reduce_implILb1ES3_PS5_S8_S5_14bbox_reductionEE10hipError_tPvRmT1_T2_T3_mT4_P12ihipStream_tbEUlT_E1_NS1_11comp_targetILNS1_3genE10ELNS1_11target_archE1200ELNS1_3gpuE4ELNS1_3repE0EEENS1_30default_config_static_selectorELNS0_4arch9wavefront6targetE1EEEvSD_
    .private_segment_fixed_size: 0
    .sgpr_count:     4
    .sgpr_spill_count: 0
    .symbol:         _ZN7rocprim17ROCPRIM_400000_NS6detail17trampoline_kernelINS0_14default_configENS1_22reduce_config_selectorI4bboxEEZNS1_11reduce_implILb1ES3_PS5_S8_S5_14bbox_reductionEE10hipError_tPvRmT1_T2_T3_mT4_P12ihipStream_tbEUlT_E1_NS1_11comp_targetILNS1_3genE10ELNS1_11target_archE1200ELNS1_3gpuE4ELNS1_3repE0EEENS1_30default_config_static_selectorELNS0_4arch9wavefront6targetE1EEEvSD_.kd
    .uniform_work_group_size: 1
    .uses_dynamic_stack: false
    .vgpr_count:     0
    .vgpr_spill_count: 0
    .wavefront_size: 64
  - .args:
      - .offset:         0
        .size:           56
        .value_kind:     by_value
    .group_segment_fixed_size: 0
    .kernarg_segment_align: 8
    .kernarg_segment_size: 56
    .language:       OpenCL C
    .language_version:
      - 2
      - 0
    .max_flat_workgroup_size: 256
    .name:           _ZN7rocprim17ROCPRIM_400000_NS6detail17trampoline_kernelINS0_14default_configENS1_22reduce_config_selectorI4bboxEEZNS1_11reduce_implILb1ES3_PS5_S8_S5_14bbox_reductionEE10hipError_tPvRmT1_T2_T3_mT4_P12ihipStream_tbEUlT_E1_NS1_11comp_targetILNS1_3genE9ELNS1_11target_archE1100ELNS1_3gpuE3ELNS1_3repE0EEENS1_30default_config_static_selectorELNS0_4arch9wavefront6targetE1EEEvSD_
    .private_segment_fixed_size: 0
    .sgpr_count:     4
    .sgpr_spill_count: 0
    .symbol:         _ZN7rocprim17ROCPRIM_400000_NS6detail17trampoline_kernelINS0_14default_configENS1_22reduce_config_selectorI4bboxEEZNS1_11reduce_implILb1ES3_PS5_S8_S5_14bbox_reductionEE10hipError_tPvRmT1_T2_T3_mT4_P12ihipStream_tbEUlT_E1_NS1_11comp_targetILNS1_3genE9ELNS1_11target_archE1100ELNS1_3gpuE3ELNS1_3repE0EEENS1_30default_config_static_selectorELNS0_4arch9wavefront6targetE1EEEvSD_.kd
    .uniform_work_group_size: 1
    .uses_dynamic_stack: false
    .vgpr_count:     0
    .vgpr_spill_count: 0
    .wavefront_size: 64
  - .args:
      - .offset:         0
        .size:           56
        .value_kind:     by_value
    .group_segment_fixed_size: 0
    .kernarg_segment_align: 8
    .kernarg_segment_size: 56
    .language:       OpenCL C
    .language_version:
      - 2
      - 0
    .max_flat_workgroup_size: 256
    .name:           _ZN7rocprim17ROCPRIM_400000_NS6detail17trampoline_kernelINS0_14default_configENS1_22reduce_config_selectorI4bboxEEZNS1_11reduce_implILb1ES3_PS5_S8_S5_14bbox_reductionEE10hipError_tPvRmT1_T2_T3_mT4_P12ihipStream_tbEUlT_E1_NS1_11comp_targetILNS1_3genE8ELNS1_11target_archE1030ELNS1_3gpuE2ELNS1_3repE0EEENS1_30default_config_static_selectorELNS0_4arch9wavefront6targetE1EEEvSD_
    .private_segment_fixed_size: 0
    .sgpr_count:     4
    .sgpr_spill_count: 0
    .symbol:         _ZN7rocprim17ROCPRIM_400000_NS6detail17trampoline_kernelINS0_14default_configENS1_22reduce_config_selectorI4bboxEEZNS1_11reduce_implILb1ES3_PS5_S8_S5_14bbox_reductionEE10hipError_tPvRmT1_T2_T3_mT4_P12ihipStream_tbEUlT_E1_NS1_11comp_targetILNS1_3genE8ELNS1_11target_archE1030ELNS1_3gpuE2ELNS1_3repE0EEENS1_30default_config_static_selectorELNS0_4arch9wavefront6targetE1EEEvSD_.kd
    .uniform_work_group_size: 1
    .uses_dynamic_stack: false
    .vgpr_count:     0
    .vgpr_spill_count: 0
    .wavefront_size: 64
  - .args:
      - .offset:         0
        .size:           72
        .value_kind:     by_value
    .group_segment_fixed_size: 0
    .kernarg_segment_align: 8
    .kernarg_segment_size: 72
    .language:       OpenCL C
    .language_version:
      - 2
      - 0
    .max_flat_workgroup_size: 256
    .name:           _ZN7rocprim17ROCPRIM_400000_NS6detail17trampoline_kernelINS0_14default_configENS1_22reduce_config_selectorI7point2dEEZNS1_11reduce_implILb1ES3_N6thrust23THRUST_200600_302600_NS6detail15normal_iteratorINS9_10device_ptrIS5_EEEEP4bboxSF_14bbox_reductionEE10hipError_tPvRmT1_T2_T3_mT4_P12ihipStream_tbEUlT_E0_NS1_11comp_targetILNS1_3genE0ELNS1_11target_archE4294967295ELNS1_3gpuE0ELNS1_3repE0EEENS1_30default_config_static_selectorELNS0_4arch9wavefront6targetE1EEEvSL_
    .private_segment_fixed_size: 0
    .sgpr_count:     4
    .sgpr_spill_count: 0
    .symbol:         _ZN7rocprim17ROCPRIM_400000_NS6detail17trampoline_kernelINS0_14default_configENS1_22reduce_config_selectorI7point2dEEZNS1_11reduce_implILb1ES3_N6thrust23THRUST_200600_302600_NS6detail15normal_iteratorINS9_10device_ptrIS5_EEEEP4bboxSF_14bbox_reductionEE10hipError_tPvRmT1_T2_T3_mT4_P12ihipStream_tbEUlT_E0_NS1_11comp_targetILNS1_3genE0ELNS1_11target_archE4294967295ELNS1_3gpuE0ELNS1_3repE0EEENS1_30default_config_static_selectorELNS0_4arch9wavefront6targetE1EEEvSL_.kd
    .uniform_work_group_size: 1
    .uses_dynamic_stack: false
    .vgpr_count:     0
    .vgpr_spill_count: 0
    .wavefront_size: 64
  - .args:
      - .offset:         0
        .size:           72
        .value_kind:     by_value
    .group_segment_fixed_size: 0
    .kernarg_segment_align: 8
    .kernarg_segment_size: 72
    .language:       OpenCL C
    .language_version:
      - 2
      - 0
    .max_flat_workgroup_size: 256
    .name:           _ZN7rocprim17ROCPRIM_400000_NS6detail17trampoline_kernelINS0_14default_configENS1_22reduce_config_selectorI7point2dEEZNS1_11reduce_implILb1ES3_N6thrust23THRUST_200600_302600_NS6detail15normal_iteratorINS9_10device_ptrIS5_EEEEP4bboxSF_14bbox_reductionEE10hipError_tPvRmT1_T2_T3_mT4_P12ihipStream_tbEUlT_E0_NS1_11comp_targetILNS1_3genE5ELNS1_11target_archE942ELNS1_3gpuE9ELNS1_3repE0EEENS1_30default_config_static_selectorELNS0_4arch9wavefront6targetE1EEEvSL_
    .private_segment_fixed_size: 0
    .sgpr_count:     4
    .sgpr_spill_count: 0
    .symbol:         _ZN7rocprim17ROCPRIM_400000_NS6detail17trampoline_kernelINS0_14default_configENS1_22reduce_config_selectorI7point2dEEZNS1_11reduce_implILb1ES3_N6thrust23THRUST_200600_302600_NS6detail15normal_iteratorINS9_10device_ptrIS5_EEEEP4bboxSF_14bbox_reductionEE10hipError_tPvRmT1_T2_T3_mT4_P12ihipStream_tbEUlT_E0_NS1_11comp_targetILNS1_3genE5ELNS1_11target_archE942ELNS1_3gpuE9ELNS1_3repE0EEENS1_30default_config_static_selectorELNS0_4arch9wavefront6targetE1EEEvSL_.kd
    .uniform_work_group_size: 1
    .uses_dynamic_stack: false
    .vgpr_count:     0
    .vgpr_spill_count: 0
    .wavefront_size: 64
  - .args:
      - .offset:         0
        .size:           72
        .value_kind:     by_value
    .group_segment_fixed_size: 0
    .kernarg_segment_align: 8
    .kernarg_segment_size: 72
    .language:       OpenCL C
    .language_version:
      - 2
      - 0
    .max_flat_workgroup_size: 256
    .name:           _ZN7rocprim17ROCPRIM_400000_NS6detail17trampoline_kernelINS0_14default_configENS1_22reduce_config_selectorI7point2dEEZNS1_11reduce_implILb1ES3_N6thrust23THRUST_200600_302600_NS6detail15normal_iteratorINS9_10device_ptrIS5_EEEEP4bboxSF_14bbox_reductionEE10hipError_tPvRmT1_T2_T3_mT4_P12ihipStream_tbEUlT_E0_NS1_11comp_targetILNS1_3genE4ELNS1_11target_archE910ELNS1_3gpuE8ELNS1_3repE0EEENS1_30default_config_static_selectorELNS0_4arch9wavefront6targetE1EEEvSL_
    .private_segment_fixed_size: 0
    .sgpr_count:     4
    .sgpr_spill_count: 0
    .symbol:         _ZN7rocprim17ROCPRIM_400000_NS6detail17trampoline_kernelINS0_14default_configENS1_22reduce_config_selectorI7point2dEEZNS1_11reduce_implILb1ES3_N6thrust23THRUST_200600_302600_NS6detail15normal_iteratorINS9_10device_ptrIS5_EEEEP4bboxSF_14bbox_reductionEE10hipError_tPvRmT1_T2_T3_mT4_P12ihipStream_tbEUlT_E0_NS1_11comp_targetILNS1_3genE4ELNS1_11target_archE910ELNS1_3gpuE8ELNS1_3repE0EEENS1_30default_config_static_selectorELNS0_4arch9wavefront6targetE1EEEvSL_.kd
    .uniform_work_group_size: 1
    .uses_dynamic_stack: false
    .vgpr_count:     0
    .vgpr_spill_count: 0
    .wavefront_size: 64
  - .args:
      - .offset:         0
        .size:           72
        .value_kind:     by_value
    .group_segment_fixed_size: 0
    .kernarg_segment_align: 8
    .kernarg_segment_size: 72
    .language:       OpenCL C
    .language_version:
      - 2
      - 0
    .max_flat_workgroup_size: 256
    .name:           _ZN7rocprim17ROCPRIM_400000_NS6detail17trampoline_kernelINS0_14default_configENS1_22reduce_config_selectorI7point2dEEZNS1_11reduce_implILb1ES3_N6thrust23THRUST_200600_302600_NS6detail15normal_iteratorINS9_10device_ptrIS5_EEEEP4bboxSF_14bbox_reductionEE10hipError_tPvRmT1_T2_T3_mT4_P12ihipStream_tbEUlT_E0_NS1_11comp_targetILNS1_3genE3ELNS1_11target_archE908ELNS1_3gpuE7ELNS1_3repE0EEENS1_30default_config_static_selectorELNS0_4arch9wavefront6targetE1EEEvSL_
    .private_segment_fixed_size: 0
    .sgpr_count:     4
    .sgpr_spill_count: 0
    .symbol:         _ZN7rocprim17ROCPRIM_400000_NS6detail17trampoline_kernelINS0_14default_configENS1_22reduce_config_selectorI7point2dEEZNS1_11reduce_implILb1ES3_N6thrust23THRUST_200600_302600_NS6detail15normal_iteratorINS9_10device_ptrIS5_EEEEP4bboxSF_14bbox_reductionEE10hipError_tPvRmT1_T2_T3_mT4_P12ihipStream_tbEUlT_E0_NS1_11comp_targetILNS1_3genE3ELNS1_11target_archE908ELNS1_3gpuE7ELNS1_3repE0EEENS1_30default_config_static_selectorELNS0_4arch9wavefront6targetE1EEEvSL_.kd
    .uniform_work_group_size: 1
    .uses_dynamic_stack: false
    .vgpr_count:     0
    .vgpr_spill_count: 0
    .wavefront_size: 64
  - .args:
      - .offset:         0
        .size:           72
        .value_kind:     by_value
    .group_segment_fixed_size: 128
    .kernarg_segment_align: 8
    .kernarg_segment_size: 72
    .language:       OpenCL C
    .language_version:
      - 2
      - 0
    .max_flat_workgroup_size: 256
    .name:           _ZN7rocprim17ROCPRIM_400000_NS6detail17trampoline_kernelINS0_14default_configENS1_22reduce_config_selectorI7point2dEEZNS1_11reduce_implILb1ES3_N6thrust23THRUST_200600_302600_NS6detail15normal_iteratorINS9_10device_ptrIS5_EEEEP4bboxSF_14bbox_reductionEE10hipError_tPvRmT1_T2_T3_mT4_P12ihipStream_tbEUlT_E0_NS1_11comp_targetILNS1_3genE2ELNS1_11target_archE906ELNS1_3gpuE6ELNS1_3repE0EEENS1_30default_config_static_selectorELNS0_4arch9wavefront6targetE1EEEvSL_
    .private_segment_fixed_size: 0
    .sgpr_count:     24
    .sgpr_spill_count: 0
    .symbol:         _ZN7rocprim17ROCPRIM_400000_NS6detail17trampoline_kernelINS0_14default_configENS1_22reduce_config_selectorI7point2dEEZNS1_11reduce_implILb1ES3_N6thrust23THRUST_200600_302600_NS6detail15normal_iteratorINS9_10device_ptrIS5_EEEEP4bboxSF_14bbox_reductionEE10hipError_tPvRmT1_T2_T3_mT4_P12ihipStream_tbEUlT_E0_NS1_11comp_targetILNS1_3genE2ELNS1_11target_archE906ELNS1_3gpuE6ELNS1_3repE0EEENS1_30default_config_static_selectorELNS0_4arch9wavefront6targetE1EEEvSL_.kd
    .uniform_work_group_size: 1
    .uses_dynamic_stack: false
    .vgpr_count:     14
    .vgpr_spill_count: 0
    .wavefront_size: 64
  - .args:
      - .offset:         0
        .size:           72
        .value_kind:     by_value
    .group_segment_fixed_size: 0
    .kernarg_segment_align: 8
    .kernarg_segment_size: 72
    .language:       OpenCL C
    .language_version:
      - 2
      - 0
    .max_flat_workgroup_size: 256
    .name:           _ZN7rocprim17ROCPRIM_400000_NS6detail17trampoline_kernelINS0_14default_configENS1_22reduce_config_selectorI7point2dEEZNS1_11reduce_implILb1ES3_N6thrust23THRUST_200600_302600_NS6detail15normal_iteratorINS9_10device_ptrIS5_EEEEP4bboxSF_14bbox_reductionEE10hipError_tPvRmT1_T2_T3_mT4_P12ihipStream_tbEUlT_E0_NS1_11comp_targetILNS1_3genE10ELNS1_11target_archE1201ELNS1_3gpuE5ELNS1_3repE0EEENS1_30default_config_static_selectorELNS0_4arch9wavefront6targetE1EEEvSL_
    .private_segment_fixed_size: 0
    .sgpr_count:     4
    .sgpr_spill_count: 0
    .symbol:         _ZN7rocprim17ROCPRIM_400000_NS6detail17trampoline_kernelINS0_14default_configENS1_22reduce_config_selectorI7point2dEEZNS1_11reduce_implILb1ES3_N6thrust23THRUST_200600_302600_NS6detail15normal_iteratorINS9_10device_ptrIS5_EEEEP4bboxSF_14bbox_reductionEE10hipError_tPvRmT1_T2_T3_mT4_P12ihipStream_tbEUlT_E0_NS1_11comp_targetILNS1_3genE10ELNS1_11target_archE1201ELNS1_3gpuE5ELNS1_3repE0EEENS1_30default_config_static_selectorELNS0_4arch9wavefront6targetE1EEEvSL_.kd
    .uniform_work_group_size: 1
    .uses_dynamic_stack: false
    .vgpr_count:     0
    .vgpr_spill_count: 0
    .wavefront_size: 64
  - .args:
      - .offset:         0
        .size:           72
        .value_kind:     by_value
    .group_segment_fixed_size: 0
    .kernarg_segment_align: 8
    .kernarg_segment_size: 72
    .language:       OpenCL C
    .language_version:
      - 2
      - 0
    .max_flat_workgroup_size: 256
    .name:           _ZN7rocprim17ROCPRIM_400000_NS6detail17trampoline_kernelINS0_14default_configENS1_22reduce_config_selectorI7point2dEEZNS1_11reduce_implILb1ES3_N6thrust23THRUST_200600_302600_NS6detail15normal_iteratorINS9_10device_ptrIS5_EEEEP4bboxSF_14bbox_reductionEE10hipError_tPvRmT1_T2_T3_mT4_P12ihipStream_tbEUlT_E0_NS1_11comp_targetILNS1_3genE10ELNS1_11target_archE1200ELNS1_3gpuE4ELNS1_3repE0EEENS1_30default_config_static_selectorELNS0_4arch9wavefront6targetE1EEEvSL_
    .private_segment_fixed_size: 0
    .sgpr_count:     4
    .sgpr_spill_count: 0
    .symbol:         _ZN7rocprim17ROCPRIM_400000_NS6detail17trampoline_kernelINS0_14default_configENS1_22reduce_config_selectorI7point2dEEZNS1_11reduce_implILb1ES3_N6thrust23THRUST_200600_302600_NS6detail15normal_iteratorINS9_10device_ptrIS5_EEEEP4bboxSF_14bbox_reductionEE10hipError_tPvRmT1_T2_T3_mT4_P12ihipStream_tbEUlT_E0_NS1_11comp_targetILNS1_3genE10ELNS1_11target_archE1200ELNS1_3gpuE4ELNS1_3repE0EEENS1_30default_config_static_selectorELNS0_4arch9wavefront6targetE1EEEvSL_.kd
    .uniform_work_group_size: 1
    .uses_dynamic_stack: false
    .vgpr_count:     0
    .vgpr_spill_count: 0
    .wavefront_size: 64
  - .args:
      - .offset:         0
        .size:           72
        .value_kind:     by_value
    .group_segment_fixed_size: 0
    .kernarg_segment_align: 8
    .kernarg_segment_size: 72
    .language:       OpenCL C
    .language_version:
      - 2
      - 0
    .max_flat_workgroup_size: 256
    .name:           _ZN7rocprim17ROCPRIM_400000_NS6detail17trampoline_kernelINS0_14default_configENS1_22reduce_config_selectorI7point2dEEZNS1_11reduce_implILb1ES3_N6thrust23THRUST_200600_302600_NS6detail15normal_iteratorINS9_10device_ptrIS5_EEEEP4bboxSF_14bbox_reductionEE10hipError_tPvRmT1_T2_T3_mT4_P12ihipStream_tbEUlT_E0_NS1_11comp_targetILNS1_3genE9ELNS1_11target_archE1100ELNS1_3gpuE3ELNS1_3repE0EEENS1_30default_config_static_selectorELNS0_4arch9wavefront6targetE1EEEvSL_
    .private_segment_fixed_size: 0
    .sgpr_count:     4
    .sgpr_spill_count: 0
    .symbol:         _ZN7rocprim17ROCPRIM_400000_NS6detail17trampoline_kernelINS0_14default_configENS1_22reduce_config_selectorI7point2dEEZNS1_11reduce_implILb1ES3_N6thrust23THRUST_200600_302600_NS6detail15normal_iteratorINS9_10device_ptrIS5_EEEEP4bboxSF_14bbox_reductionEE10hipError_tPvRmT1_T2_T3_mT4_P12ihipStream_tbEUlT_E0_NS1_11comp_targetILNS1_3genE9ELNS1_11target_archE1100ELNS1_3gpuE3ELNS1_3repE0EEENS1_30default_config_static_selectorELNS0_4arch9wavefront6targetE1EEEvSL_.kd
    .uniform_work_group_size: 1
    .uses_dynamic_stack: false
    .vgpr_count:     0
    .vgpr_spill_count: 0
    .wavefront_size: 64
  - .args:
      - .offset:         0
        .size:           72
        .value_kind:     by_value
    .group_segment_fixed_size: 0
    .kernarg_segment_align: 8
    .kernarg_segment_size: 72
    .language:       OpenCL C
    .language_version:
      - 2
      - 0
    .max_flat_workgroup_size: 256
    .name:           _ZN7rocprim17ROCPRIM_400000_NS6detail17trampoline_kernelINS0_14default_configENS1_22reduce_config_selectorI7point2dEEZNS1_11reduce_implILb1ES3_N6thrust23THRUST_200600_302600_NS6detail15normal_iteratorINS9_10device_ptrIS5_EEEEP4bboxSF_14bbox_reductionEE10hipError_tPvRmT1_T2_T3_mT4_P12ihipStream_tbEUlT_E0_NS1_11comp_targetILNS1_3genE8ELNS1_11target_archE1030ELNS1_3gpuE2ELNS1_3repE0EEENS1_30default_config_static_selectorELNS0_4arch9wavefront6targetE1EEEvSL_
    .private_segment_fixed_size: 0
    .sgpr_count:     4
    .sgpr_spill_count: 0
    .symbol:         _ZN7rocprim17ROCPRIM_400000_NS6detail17trampoline_kernelINS0_14default_configENS1_22reduce_config_selectorI7point2dEEZNS1_11reduce_implILb1ES3_N6thrust23THRUST_200600_302600_NS6detail15normal_iteratorINS9_10device_ptrIS5_EEEEP4bboxSF_14bbox_reductionEE10hipError_tPvRmT1_T2_T3_mT4_P12ihipStream_tbEUlT_E0_NS1_11comp_targetILNS1_3genE8ELNS1_11target_archE1030ELNS1_3gpuE2ELNS1_3repE0EEENS1_30default_config_static_selectorELNS0_4arch9wavefront6targetE1EEEvSL_.kd
    .uniform_work_group_size: 1
    .uses_dynamic_stack: false
    .vgpr_count:     0
    .vgpr_spill_count: 0
    .wavefront_size: 64
  - .args:
      - .offset:         0
        .size:           56
        .value_kind:     by_value
    .group_segment_fixed_size: 0
    .kernarg_segment_align: 8
    .kernarg_segment_size: 56
    .language:       OpenCL C
    .language_version:
      - 2
      - 0
    .max_flat_workgroup_size: 256
    .name:           _ZN7rocprim17ROCPRIM_400000_NS6detail17trampoline_kernelINS0_14default_configENS1_22reduce_config_selectorI7point2dEEZNS1_11reduce_implILb1ES3_N6thrust23THRUST_200600_302600_NS6detail15normal_iteratorINS9_10device_ptrIS5_EEEEP4bboxSF_14bbox_reductionEE10hipError_tPvRmT1_T2_T3_mT4_P12ihipStream_tbEUlT_E1_NS1_11comp_targetILNS1_3genE0ELNS1_11target_archE4294967295ELNS1_3gpuE0ELNS1_3repE0EEENS1_30default_config_static_selectorELNS0_4arch9wavefront6targetE1EEEvSL_
    .private_segment_fixed_size: 0
    .sgpr_count:     4
    .sgpr_spill_count: 0
    .symbol:         _ZN7rocprim17ROCPRIM_400000_NS6detail17trampoline_kernelINS0_14default_configENS1_22reduce_config_selectorI7point2dEEZNS1_11reduce_implILb1ES3_N6thrust23THRUST_200600_302600_NS6detail15normal_iteratorINS9_10device_ptrIS5_EEEEP4bboxSF_14bbox_reductionEE10hipError_tPvRmT1_T2_T3_mT4_P12ihipStream_tbEUlT_E1_NS1_11comp_targetILNS1_3genE0ELNS1_11target_archE4294967295ELNS1_3gpuE0ELNS1_3repE0EEENS1_30default_config_static_selectorELNS0_4arch9wavefront6targetE1EEEvSL_.kd
    .uniform_work_group_size: 1
    .uses_dynamic_stack: false
    .vgpr_count:     0
    .vgpr_spill_count: 0
    .wavefront_size: 64
  - .args:
      - .offset:         0
        .size:           56
        .value_kind:     by_value
    .group_segment_fixed_size: 0
    .kernarg_segment_align: 8
    .kernarg_segment_size: 56
    .language:       OpenCL C
    .language_version:
      - 2
      - 0
    .max_flat_workgroup_size: 256
    .name:           _ZN7rocprim17ROCPRIM_400000_NS6detail17trampoline_kernelINS0_14default_configENS1_22reduce_config_selectorI7point2dEEZNS1_11reduce_implILb1ES3_N6thrust23THRUST_200600_302600_NS6detail15normal_iteratorINS9_10device_ptrIS5_EEEEP4bboxSF_14bbox_reductionEE10hipError_tPvRmT1_T2_T3_mT4_P12ihipStream_tbEUlT_E1_NS1_11comp_targetILNS1_3genE5ELNS1_11target_archE942ELNS1_3gpuE9ELNS1_3repE0EEENS1_30default_config_static_selectorELNS0_4arch9wavefront6targetE1EEEvSL_
    .private_segment_fixed_size: 0
    .sgpr_count:     4
    .sgpr_spill_count: 0
    .symbol:         _ZN7rocprim17ROCPRIM_400000_NS6detail17trampoline_kernelINS0_14default_configENS1_22reduce_config_selectorI7point2dEEZNS1_11reduce_implILb1ES3_N6thrust23THRUST_200600_302600_NS6detail15normal_iteratorINS9_10device_ptrIS5_EEEEP4bboxSF_14bbox_reductionEE10hipError_tPvRmT1_T2_T3_mT4_P12ihipStream_tbEUlT_E1_NS1_11comp_targetILNS1_3genE5ELNS1_11target_archE942ELNS1_3gpuE9ELNS1_3repE0EEENS1_30default_config_static_selectorELNS0_4arch9wavefront6targetE1EEEvSL_.kd
    .uniform_work_group_size: 1
    .uses_dynamic_stack: false
    .vgpr_count:     0
    .vgpr_spill_count: 0
    .wavefront_size: 64
  - .args:
      - .offset:         0
        .size:           56
        .value_kind:     by_value
    .group_segment_fixed_size: 0
    .kernarg_segment_align: 8
    .kernarg_segment_size: 56
    .language:       OpenCL C
    .language_version:
      - 2
      - 0
    .max_flat_workgroup_size: 256
    .name:           _ZN7rocprim17ROCPRIM_400000_NS6detail17trampoline_kernelINS0_14default_configENS1_22reduce_config_selectorI7point2dEEZNS1_11reduce_implILb1ES3_N6thrust23THRUST_200600_302600_NS6detail15normal_iteratorINS9_10device_ptrIS5_EEEEP4bboxSF_14bbox_reductionEE10hipError_tPvRmT1_T2_T3_mT4_P12ihipStream_tbEUlT_E1_NS1_11comp_targetILNS1_3genE4ELNS1_11target_archE910ELNS1_3gpuE8ELNS1_3repE0EEENS1_30default_config_static_selectorELNS0_4arch9wavefront6targetE1EEEvSL_
    .private_segment_fixed_size: 0
    .sgpr_count:     4
    .sgpr_spill_count: 0
    .symbol:         _ZN7rocprim17ROCPRIM_400000_NS6detail17trampoline_kernelINS0_14default_configENS1_22reduce_config_selectorI7point2dEEZNS1_11reduce_implILb1ES3_N6thrust23THRUST_200600_302600_NS6detail15normal_iteratorINS9_10device_ptrIS5_EEEEP4bboxSF_14bbox_reductionEE10hipError_tPvRmT1_T2_T3_mT4_P12ihipStream_tbEUlT_E1_NS1_11comp_targetILNS1_3genE4ELNS1_11target_archE910ELNS1_3gpuE8ELNS1_3repE0EEENS1_30default_config_static_selectorELNS0_4arch9wavefront6targetE1EEEvSL_.kd
    .uniform_work_group_size: 1
    .uses_dynamic_stack: false
    .vgpr_count:     0
    .vgpr_spill_count: 0
    .wavefront_size: 64
  - .args:
      - .offset:         0
        .size:           56
        .value_kind:     by_value
    .group_segment_fixed_size: 0
    .kernarg_segment_align: 8
    .kernarg_segment_size: 56
    .language:       OpenCL C
    .language_version:
      - 2
      - 0
    .max_flat_workgroup_size: 256
    .name:           _ZN7rocprim17ROCPRIM_400000_NS6detail17trampoline_kernelINS0_14default_configENS1_22reduce_config_selectorI7point2dEEZNS1_11reduce_implILb1ES3_N6thrust23THRUST_200600_302600_NS6detail15normal_iteratorINS9_10device_ptrIS5_EEEEP4bboxSF_14bbox_reductionEE10hipError_tPvRmT1_T2_T3_mT4_P12ihipStream_tbEUlT_E1_NS1_11comp_targetILNS1_3genE3ELNS1_11target_archE908ELNS1_3gpuE7ELNS1_3repE0EEENS1_30default_config_static_selectorELNS0_4arch9wavefront6targetE1EEEvSL_
    .private_segment_fixed_size: 0
    .sgpr_count:     4
    .sgpr_spill_count: 0
    .symbol:         _ZN7rocprim17ROCPRIM_400000_NS6detail17trampoline_kernelINS0_14default_configENS1_22reduce_config_selectorI7point2dEEZNS1_11reduce_implILb1ES3_N6thrust23THRUST_200600_302600_NS6detail15normal_iteratorINS9_10device_ptrIS5_EEEEP4bboxSF_14bbox_reductionEE10hipError_tPvRmT1_T2_T3_mT4_P12ihipStream_tbEUlT_E1_NS1_11comp_targetILNS1_3genE3ELNS1_11target_archE908ELNS1_3gpuE7ELNS1_3repE0EEENS1_30default_config_static_selectorELNS0_4arch9wavefront6targetE1EEEvSL_.kd
    .uniform_work_group_size: 1
    .uses_dynamic_stack: false
    .vgpr_count:     0
    .vgpr_spill_count: 0
    .wavefront_size: 64
  - .args:
      - .offset:         0
        .size:           56
        .value_kind:     by_value
    .group_segment_fixed_size: 384
    .kernarg_segment_align: 8
    .kernarg_segment_size: 56
    .language:       OpenCL C
    .language_version:
      - 2
      - 0
    .max_flat_workgroup_size: 256
    .name:           _ZN7rocprim17ROCPRIM_400000_NS6detail17trampoline_kernelINS0_14default_configENS1_22reduce_config_selectorI7point2dEEZNS1_11reduce_implILb1ES3_N6thrust23THRUST_200600_302600_NS6detail15normal_iteratorINS9_10device_ptrIS5_EEEEP4bboxSF_14bbox_reductionEE10hipError_tPvRmT1_T2_T3_mT4_P12ihipStream_tbEUlT_E1_NS1_11comp_targetILNS1_3genE2ELNS1_11target_archE906ELNS1_3gpuE6ELNS1_3repE0EEENS1_30default_config_static_selectorELNS0_4arch9wavefront6targetE1EEEvSL_
    .private_segment_fixed_size: 0
    .sgpr_count:     53
    .sgpr_spill_count: 0
    .symbol:         _ZN7rocprim17ROCPRIM_400000_NS6detail17trampoline_kernelINS0_14default_configENS1_22reduce_config_selectorI7point2dEEZNS1_11reduce_implILb1ES3_N6thrust23THRUST_200600_302600_NS6detail15normal_iteratorINS9_10device_ptrIS5_EEEEP4bboxSF_14bbox_reductionEE10hipError_tPvRmT1_T2_T3_mT4_P12ihipStream_tbEUlT_E1_NS1_11comp_targetILNS1_3genE2ELNS1_11target_archE906ELNS1_3gpuE6ELNS1_3repE0EEENS1_30default_config_static_selectorELNS0_4arch9wavefront6targetE1EEEvSL_.kd
    .uniform_work_group_size: 1
    .uses_dynamic_stack: false
    .vgpr_count:     37
    .vgpr_spill_count: 0
    .wavefront_size: 64
  - .args:
      - .offset:         0
        .size:           56
        .value_kind:     by_value
    .group_segment_fixed_size: 0
    .kernarg_segment_align: 8
    .kernarg_segment_size: 56
    .language:       OpenCL C
    .language_version:
      - 2
      - 0
    .max_flat_workgroup_size: 256
    .name:           _ZN7rocprim17ROCPRIM_400000_NS6detail17trampoline_kernelINS0_14default_configENS1_22reduce_config_selectorI7point2dEEZNS1_11reduce_implILb1ES3_N6thrust23THRUST_200600_302600_NS6detail15normal_iteratorINS9_10device_ptrIS5_EEEEP4bboxSF_14bbox_reductionEE10hipError_tPvRmT1_T2_T3_mT4_P12ihipStream_tbEUlT_E1_NS1_11comp_targetILNS1_3genE10ELNS1_11target_archE1201ELNS1_3gpuE5ELNS1_3repE0EEENS1_30default_config_static_selectorELNS0_4arch9wavefront6targetE1EEEvSL_
    .private_segment_fixed_size: 0
    .sgpr_count:     4
    .sgpr_spill_count: 0
    .symbol:         _ZN7rocprim17ROCPRIM_400000_NS6detail17trampoline_kernelINS0_14default_configENS1_22reduce_config_selectorI7point2dEEZNS1_11reduce_implILb1ES3_N6thrust23THRUST_200600_302600_NS6detail15normal_iteratorINS9_10device_ptrIS5_EEEEP4bboxSF_14bbox_reductionEE10hipError_tPvRmT1_T2_T3_mT4_P12ihipStream_tbEUlT_E1_NS1_11comp_targetILNS1_3genE10ELNS1_11target_archE1201ELNS1_3gpuE5ELNS1_3repE0EEENS1_30default_config_static_selectorELNS0_4arch9wavefront6targetE1EEEvSL_.kd
    .uniform_work_group_size: 1
    .uses_dynamic_stack: false
    .vgpr_count:     0
    .vgpr_spill_count: 0
    .wavefront_size: 64
  - .args:
      - .offset:         0
        .size:           56
        .value_kind:     by_value
    .group_segment_fixed_size: 0
    .kernarg_segment_align: 8
    .kernarg_segment_size: 56
    .language:       OpenCL C
    .language_version:
      - 2
      - 0
    .max_flat_workgroup_size: 256
    .name:           _ZN7rocprim17ROCPRIM_400000_NS6detail17trampoline_kernelINS0_14default_configENS1_22reduce_config_selectorI7point2dEEZNS1_11reduce_implILb1ES3_N6thrust23THRUST_200600_302600_NS6detail15normal_iteratorINS9_10device_ptrIS5_EEEEP4bboxSF_14bbox_reductionEE10hipError_tPvRmT1_T2_T3_mT4_P12ihipStream_tbEUlT_E1_NS1_11comp_targetILNS1_3genE10ELNS1_11target_archE1200ELNS1_3gpuE4ELNS1_3repE0EEENS1_30default_config_static_selectorELNS0_4arch9wavefront6targetE1EEEvSL_
    .private_segment_fixed_size: 0
    .sgpr_count:     4
    .sgpr_spill_count: 0
    .symbol:         _ZN7rocprim17ROCPRIM_400000_NS6detail17trampoline_kernelINS0_14default_configENS1_22reduce_config_selectorI7point2dEEZNS1_11reduce_implILb1ES3_N6thrust23THRUST_200600_302600_NS6detail15normal_iteratorINS9_10device_ptrIS5_EEEEP4bboxSF_14bbox_reductionEE10hipError_tPvRmT1_T2_T3_mT4_P12ihipStream_tbEUlT_E1_NS1_11comp_targetILNS1_3genE10ELNS1_11target_archE1200ELNS1_3gpuE4ELNS1_3repE0EEENS1_30default_config_static_selectorELNS0_4arch9wavefront6targetE1EEEvSL_.kd
    .uniform_work_group_size: 1
    .uses_dynamic_stack: false
    .vgpr_count:     0
    .vgpr_spill_count: 0
    .wavefront_size: 64
  - .args:
      - .offset:         0
        .size:           56
        .value_kind:     by_value
    .group_segment_fixed_size: 0
    .kernarg_segment_align: 8
    .kernarg_segment_size: 56
    .language:       OpenCL C
    .language_version:
      - 2
      - 0
    .max_flat_workgroup_size: 256
    .name:           _ZN7rocprim17ROCPRIM_400000_NS6detail17trampoline_kernelINS0_14default_configENS1_22reduce_config_selectorI7point2dEEZNS1_11reduce_implILb1ES3_N6thrust23THRUST_200600_302600_NS6detail15normal_iteratorINS9_10device_ptrIS5_EEEEP4bboxSF_14bbox_reductionEE10hipError_tPvRmT1_T2_T3_mT4_P12ihipStream_tbEUlT_E1_NS1_11comp_targetILNS1_3genE9ELNS1_11target_archE1100ELNS1_3gpuE3ELNS1_3repE0EEENS1_30default_config_static_selectorELNS0_4arch9wavefront6targetE1EEEvSL_
    .private_segment_fixed_size: 0
    .sgpr_count:     4
    .sgpr_spill_count: 0
    .symbol:         _ZN7rocprim17ROCPRIM_400000_NS6detail17trampoline_kernelINS0_14default_configENS1_22reduce_config_selectorI7point2dEEZNS1_11reduce_implILb1ES3_N6thrust23THRUST_200600_302600_NS6detail15normal_iteratorINS9_10device_ptrIS5_EEEEP4bboxSF_14bbox_reductionEE10hipError_tPvRmT1_T2_T3_mT4_P12ihipStream_tbEUlT_E1_NS1_11comp_targetILNS1_3genE9ELNS1_11target_archE1100ELNS1_3gpuE3ELNS1_3repE0EEENS1_30default_config_static_selectorELNS0_4arch9wavefront6targetE1EEEvSL_.kd
    .uniform_work_group_size: 1
    .uses_dynamic_stack: false
    .vgpr_count:     0
    .vgpr_spill_count: 0
    .wavefront_size: 64
  - .args:
      - .offset:         0
        .size:           56
        .value_kind:     by_value
    .group_segment_fixed_size: 0
    .kernarg_segment_align: 8
    .kernarg_segment_size: 56
    .language:       OpenCL C
    .language_version:
      - 2
      - 0
    .max_flat_workgroup_size: 256
    .name:           _ZN7rocprim17ROCPRIM_400000_NS6detail17trampoline_kernelINS0_14default_configENS1_22reduce_config_selectorI7point2dEEZNS1_11reduce_implILb1ES3_N6thrust23THRUST_200600_302600_NS6detail15normal_iteratorINS9_10device_ptrIS5_EEEEP4bboxSF_14bbox_reductionEE10hipError_tPvRmT1_T2_T3_mT4_P12ihipStream_tbEUlT_E1_NS1_11comp_targetILNS1_3genE8ELNS1_11target_archE1030ELNS1_3gpuE2ELNS1_3repE0EEENS1_30default_config_static_selectorELNS0_4arch9wavefront6targetE1EEEvSL_
    .private_segment_fixed_size: 0
    .sgpr_count:     4
    .sgpr_spill_count: 0
    .symbol:         _ZN7rocprim17ROCPRIM_400000_NS6detail17trampoline_kernelINS0_14default_configENS1_22reduce_config_selectorI7point2dEEZNS1_11reduce_implILb1ES3_N6thrust23THRUST_200600_302600_NS6detail15normal_iteratorINS9_10device_ptrIS5_EEEEP4bboxSF_14bbox_reductionEE10hipError_tPvRmT1_T2_T3_mT4_P12ihipStream_tbEUlT_E1_NS1_11comp_targetILNS1_3genE8ELNS1_11target_archE1030ELNS1_3gpuE2ELNS1_3repE0EEENS1_30default_config_static_selectorELNS0_4arch9wavefront6targetE1EEEvSL_.kd
    .uniform_work_group_size: 1
    .uses_dynamic_stack: false
    .vgpr_count:     0
    .vgpr_spill_count: 0
    .wavefront_size: 64
amdhsa.target:   amdgcn-amd-amdhsa--gfx906
amdhsa.version:
  - 1
  - 2
...

	.end_amdgpu_metadata
